;; amdgpu-corpus repo=ROCm/rccl kind=compiled arch=gfx90a opt=O3
	.text
	.amdgcn_target "amdgcn-amd-amdhsa--gfx90a"
	.amdhsa_code_object_version 6
	.p2align	2                               ; -- Begin function _ZN12_GLOBAL__N_17runRingIa7FuncSumIaE7ProtoLLLi0ELi1ELi0ELb0EEEviiP15ncclDevWorkColl
	.type	_ZN12_GLOBAL__N_17runRingIa7FuncSumIaE7ProtoLLLi0ELi1ELi0ELb0EEEviiP15ncclDevWorkColl,@function
_ZN12_GLOBAL__N_17runRingIa7FuncSumIaE7ProtoLLLi0ELi1ELi0ELb0EEEviiP15ncclDevWorkColl: ; @_ZN12_GLOBAL__N_17runRingIa7FuncSumIaE7ProtoLLLi0ELi1ELi0ELb0EEEviiP15ncclDevWorkColl
; %bb.0:
	s_waitcnt vmcnt(0) expcnt(0) lgkmcnt(0)
	s_or_saveexec_b64 s[4:5], -1
	buffer_store_dword v63, off, s[0:3], s32 offset:84 ; 4-byte Folded Spill
	s_mov_b64 exec, s[4:5]
	buffer_store_dword v40, off, s[0:3], s32 offset:80 ; 4-byte Folded Spill
	buffer_store_dword v41, off, s[0:3], s32 offset:76 ; 4-byte Folded Spill
	;; [unrolled: 1-line block ×20, first 2 shown]
	buffer_store_dword a37, off, s[0:3], s32 ; 4-byte Folded Spill
	v_writelane_b32 v63, s34, 0
	v_writelane_b32 v63, s35, 1
	v_writelane_b32 v63, s36, 2
	v_writelane_b32 v63, s37, 3
	v_writelane_b32 v63, s38, 4
	v_writelane_b32 v63, s39, 5
	v_writelane_b32 v63, s40, 6
	v_writelane_b32 v63, s41, 7
	v_writelane_b32 v63, s42, 8
	v_writelane_b32 v63, s43, 9
	v_writelane_b32 v63, s44, 10
	v_writelane_b32 v63, s45, 11
	v_writelane_b32 v63, s46, 12
	v_writelane_b32 v63, s47, 13
	v_writelane_b32 v63, s48, 14
	v_writelane_b32 v63, s49, 15
	v_writelane_b32 v63, s50, 16
	v_writelane_b32 v63, s51, 17
	v_writelane_b32 v63, s52, 18
	v_writelane_b32 v63, s53, 19
	v_writelane_b32 v63, s54, 20
	v_writelane_b32 v63, s55, 21
	v_writelane_b32 v63, s56, 22
	v_writelane_b32 v63, s30, 23
	v_writelane_b32 v63, s31, 24
	v_mov_b32_e32 v11, v31
	s_trap 2
	flat_load_dword v7, v[2:3]
	flat_load_dwordx4 v[28:31], v[2:3] offset:72
	flat_load_dwordx2 v[12:13], v[2:3] offset:88
	ds_read_b32 v5, v0
	ds_read_b64 v[22:23], v0
	v_mov_b32_e32 v26, v0
	v_mov_b32_e32 v20, v1
                                        ; implicit-def: $agpr4_agpr5
	s_waitcnt lgkmcnt(0)
	v_readfirstlane_b32 s52, v5
	s_waitcnt vmcnt(0)
	v_not_b32_sdwa v6, v7 dst_sel:DWORD dst_unused:UNUSED_PAD src0_sel:BYTE_0
	v_add_u32_sdwa v0, v7, v6 dst_sel:DWORD dst_unused:UNUSED_PAD src0_sel:BYTE_1 src1_sel:DWORD
	v_ashrrev_i32_e32 v1, 31, v0
	v_mul_lo_u32 v4, v31, v0
	v_mad_u64_u32 v[14:15], s[4:5], v30, v0, 0
	v_mul_lo_u32 v0, v30, v1
	v_add3_u32 v4, v15, v0, v4
	v_cmp_ne_u32_sdwa s[4:5], v7, v5 src0_sel:BYTE_0 src1_sel:DWORD
                                        ; implicit-def: $vgpr0_vgpr1
	s_and_saveexec_b64 s[6:7], s[4:5]
	s_xor_b64 s[4:5], exec, s[6:7]
	s_cbranch_execz .LBB0_6
; %bb.1:
	v_cmp_ne_u32_sdwa s[6:7], v7, v5 src0_sel:BYTE_1 src1_sel:DWORD
                                        ; implicit-def: $vgpr0_vgpr1
                                        ; implicit-def: $agpr4_agpr5
	s_and_saveexec_b64 s[10:11], s[6:7]
	s_xor_b64 s[6:7], exec, s[10:11]
	s_cbranch_execz .LBB0_3
; %bb.2:
	flat_load_dwordx2 v[0:1], v[2:3] offset:96
	v_add_u32_e32 v5, v5, v6
	v_ashrrev_i32_e32 v6, 31, v5
	v_mul_lo_u32 v6, v30, v6
	v_mul_lo_u32 v7, v31, v5
	v_mad_u64_u32 v[8:9], s[10:11], v30, v5, v[28:29]
	v_add3_u32 v9, v7, v9, v6
	v_accvgpr_write_b32 a4, v8
	v_accvgpr_write_b32 a5, v9
	s_waitcnt vmcnt(0) lgkmcnt(0)
	v_lshrrev_b64 v[0:1], 21, v[0:1]
.LBB0_3:
	s_andn2_saveexec_b64 s[6:7], s[6:7]
	s_cbranch_execz .LBB0_5
; %bb.4:
	flat_load_dword v0, v[2:3] offset:100
	v_add_co_u32_e32 v6, vcc, v14, v28
	v_addc_co_u32_e32 v7, vcc, v4, v29, vcc
	v_accvgpr_write_b32 a4, v6
	v_accvgpr_write_b32 a5, v7
	v_pk_mov_b32 v[30:31], v[12:13], v[12:13] op_sel:[0,1]
	s_waitcnt vmcnt(0) lgkmcnt(0)
	v_lshrrev_b32_e32 v0, 10, v0
.LBB0_5:
	s_or_b64 exec, exec, s[6:7]
.LBB0_6:
	s_andn2_saveexec_b64 s[4:5], s[4:5]
	s_cbranch_execz .LBB0_8
; %bb.7:
	flat_load_dwordx2 v[0:1], v[2:3] offset:96
	v_pk_mov_b32 v[6:7], 0, 0
	v_accvgpr_write_b32 a4, v6
	v_accvgpr_write_b32 a5, v7
	v_pk_mov_b32 v[30:31], v[28:29], v[28:29] op_sel:[0,1]
.LBB0_8:
	s_or_b64 exec, exec, s[4:5]
	flat_load_dwordx4 v[42:45], v[2:3] offset:16
	s_waitcnt vmcnt(0) lgkmcnt(0)
	v_add_co_u32_e32 v1, vcc, v12, v28
	v_addc_co_u32_e32 v5, vcc, v13, v29, vcc
	v_add_co_u32_e32 v62, vcc, v1, v14
	v_addc_co_u32_e32 v1, vcc, v5, v4, vcc
	v_accvgpr_write_b32 a1, v1
	v_cmp_ge_i32_e32 vcc, v26, v20
	s_and_saveexec_b64 s[4:5], vcc
	s_xor_b64 s[4:5], exec, s[4:5]
	s_cbranch_execz .LBB0_43
; %bb.9:
	flat_load_dword v0, v[22:23]
	v_accvgpr_read_b32 v1, a1
	s_waitcnt vmcnt(0) lgkmcnt(0)
	v_ashrrev_i32_e32 v2, 31, v0
	v_mul_lo_u32 v1, v1, v0
	v_mul_lo_u32 v2, v62, v2
	v_mad_u64_u32 v[4:5], s[6:7], v62, v0, v[42:43]
	v_add3_u32 v5, v1, v5, v2
	v_cmp_ne_u64_e32 vcc, v[44:45], v[4:5]
	s_and_saveexec_b64 s[6:7], vcc
	s_cbranch_execz .LBB0_42
; %bb.10:
	v_mad_u64_u32 v[4:5], s[10:11], v62, v0, 0
	v_add3_u32 v0, v5, v2, v1
	v_accvgpr_read_b32 v2, a4
	v_accvgpr_read_b32 v3, a5
	v_add_co_u32_e32 v16, vcc, v44, v2
	v_addc_co_u32_e32 v17, vcc, v45, v3, vcc
	v_add_co_u32_e32 v1, vcc, v42, v2
	v_addc_co_u32_e32 v2, vcc, v43, v3, vcc
	v_add_co_u32_e32 v18, vcc, v1, v4
	v_sub_u32_e32 v4, v26, v20
	v_addc_co_u32_e32 v19, vcc, v2, v0, vcc
	v_ashrrev_i32_e32 v0, 31, v4
	v_lshrrev_b32_e32 v0, 26, v0
	v_add_u32_e32 v0, v4, v0
	v_and_b32_e32 v1, 0xffffffc0, v0
	v_sub_u32_e32 v20, v4, v1
	v_cmp_gt_i32_e32 vcc, 1, v20
	v_mov_b32_e32 v1, 0
	s_and_saveexec_b64 s[10:11], vcc
; %bb.11:
	v_or_b32_e32 v1, v16, v18
	v_and_b32_e32 v1, 15, v1
	v_cmp_ne_u32_e32 vcc, 0, v1
	v_cndmask_b32_e64 v1, 0, 1, vcc
; %bb.12:
	s_or_b64 exec, exec, s[10:11]
	v_ashrrev_i32_e32 v21, 6, v0
	;;#ASMSTART
	;;#ASMEND
	v_cmp_ne_u32_e32 vcc, 0, v1
	s_cbranch_vccz .LBB0_14
; %bb.13:
	s_mov_b64 s[18:19], -1
	s_mov_b64 s[14:15], 0
	v_pk_mov_b32 v[8:9], 0, 0
	s_mov_b64 s[10:11], 0
                                        ; implicit-def: $vgpr4_vgpr5
                                        ; implicit-def: $vgpr2_vgpr3
                                        ; implicit-def: $vgpr0_vgpr1
	s_and_saveexec_b64 s[16:17], s[18:19]
	s_cbranch_execnz .LBB0_27
	s_branch .LBB0_36
.LBB0_14:
	v_ashrrev_i32_e32 v0, 31, v31
	v_lshrrev_b32_e32 v0, 22, v0
	v_add_co_u32_e32 v0, vcc, v30, v0
	v_addc_co_u32_e32 v1, vcc, 0, v31, vcc
	v_ashrrev_i64 v[12:13], 10, v[0:1]
	v_and_b32_e32 v0, 0xfffffc00, v0
	v_sub_co_u32_e32 v10, vcc, v30, v0
	v_subb_co_u32_e32 v11, vcc, v31, v1, vcc
	v_mov_b32_e32 v3, 0
	v_cmp_lt_i64_e32 vcc, 15, v[10:11]
	s_and_saveexec_b64 s[10:11], vcc
; %bb.15:
	v_add_co_u32_e32 v12, vcc, 1, v12
	v_and_b32_e32 v2, 15, v30
	v_sub_co_u32_e32 v0, vcc, v0, v2
	v_subbrev_co_u32_e32 v1, vcc, 0, v1, vcc
	v_add_co_u32_e32 v0, vcc, v0, v10
	v_addc_co_u32_e32 v1, vcc, v1, v11, vcc
	v_pk_mov_b32 v[10:11], v[2:3], v[2:3] op_sel:[0,1]
; %bb.16:
	s_or_b64 exec, exec, s[10:11]
	v_lshlrev_b32_e32 v2, 4, v4
	v_ashrrev_i32_e32 v3, 31, v2
	v_sub_co_u32_e32 v4, vcc, v30, v2
	v_subb_co_u32_e32 v5, vcc, v31, v3, vcc
	v_cmp_gt_i64_e32 vcc, 16, v[4:5]
	s_mov_b64 s[18:19], 0
	s_mov_b64 s[10:11], -1
	v_pk_mov_b32 v[8:9], 0, 0
	s_mov_b64 s[14:15], 0
                                        ; implicit-def: $vgpr4_vgpr5
                                        ; implicit-def: $vgpr30_vgpr31
	s_and_saveexec_b64 s[16:17], vcc
	s_cbranch_execz .LBB0_26
; %bb.17:
	v_cmp_ne_u64_e32 vcc, 0, v[10:11]
	v_pk_mov_b32 v[8:9], 0, 0
                                        ; implicit-def: $vgpr4_vgpr5
                                        ; implicit-def: $vgpr30_vgpr31
	s_and_saveexec_b64 s[10:11], vcc
	s_cbranch_execz .LBB0_25
; %bb.18:
	v_ashrrev_i32_e32 v4, 31, v11
	v_lshrrev_b32_e32 v4, 22, v4
	v_add_co_u32_e32 v8, vcc, v10, v4
	v_addc_co_u32_e32 v9, vcc, 0, v11, vcc
	v_and_b32_e32 v4, 0xfffffc00, v8
	v_add_co_u32_e32 v6, vcc, v4, v0
	v_addc_co_u32_e32 v7, vcc, v9, v1, vcc
	v_sub_co_u32_e32 v30, vcc, v10, v4
	v_subb_co_u32_e32 v31, vcc, v11, v9, vcc
	v_mov_b32_e32 v5, 0
	v_ashrrev_i64 v[14:15], 10, v[8:9]
	v_cmp_lt_i64_e32 vcc, 15, v[30:31]
	s_and_saveexec_b64 s[14:15], vcc
; %bb.19:
	v_add_co_u32_e32 v14, vcc, 1, v14
	v_and_b32_e32 v4, 15, v10
	v_sub_co_u32_e32 v8, vcc, v30, v4
	v_subbrev_co_u32_e32 v9, vcc, 0, v31, vcc
	v_add_co_u32_e32 v6, vcc, v8, v6
	v_addc_co_u32_e32 v7, vcc, v9, v7, vcc
	v_pk_mov_b32 v[30:31], v[4:5], v[4:5] op_sel:[0,1]
; %bb.20:
	s_or_b64 exec, exec, s[14:15]
	v_sub_u32_e32 v4, v21, v12
	v_lshl_add_u32 v4, v4, 6, v20
	v_ashrrev_i32_e32 v5, 31, v4
	v_lshrrev_b32_e32 v5, 26, v5
	v_add_u32_e32 v5, v4, v5
	v_ashrrev_i32_e32 v12, 6, v5
	v_and_b32_e32 v5, 0xffffffc0, v5
	v_sub_u32_e32 v13, v4, v5
	v_lshlrev_b32_e32 v4, 4, v13
	v_lshl_add_u32 v4, v12, 10, v4
	v_ashrrev_i32_e32 v5, 31, v4
	v_sub_co_u32_e32 v8, vcc, v10, v4
	v_subb_co_u32_e32 v9, vcc, v11, v5, vcc
	v_cmp_gt_i64_e32 vcc, 16, v[8:9]
	s_mov_b64 s[20:21], -1
	v_pk_mov_b32 v[8:9], 0, 0
                                        ; implicit-def: $vgpr20
                                        ; implicit-def: $vgpr21
	s_and_saveexec_b64 s[14:15], vcc
	s_cbranch_execz .LBB0_24
; %bb.21:
	v_cmp_ne_u64_e32 vcc, 0, v[30:31]
	v_pk_mov_b32 v[8:9], 0, 0
                                        ; implicit-def: $vgpr20
                                        ; implicit-def: $vgpr21
	s_and_saveexec_b64 s[20:21], vcc
; %bb.22:
	v_sub_u32_e32 v8, v12, v14
	v_lshl_add_u32 v8, v8, 6, v13
	v_ashrrev_i32_e32 v9, 31, v8
	v_lshrrev_b32_e32 v9, 26, v9
	v_add_u32_e32 v9, v8, v9
	v_and_b32_e32 v10, 0xffffffc0, v9
	s_mov_b64 s[18:19], exec
	v_sub_u32_e32 v20, v8, v10
	v_ashrrev_i32_e32 v21, 6, v9
	v_pk_mov_b32 v[8:9], v[6:7], v[6:7] op_sel:[0,1]
; %bb.23:
	s_or_b64 exec, exec, s[20:21]
	s_xor_b64 s[20:21], exec, -1
	s_and_b64 s[18:19], s[18:19], exec
.LBB0_24:
	s_or_b64 exec, exec, s[14:15]
	s_and_b64 s[14:15], s[20:21], exec
	s_and_b64 s[18:19], s[18:19], exec
.LBB0_25:
	s_or_b64 exec, exec, s[10:11]
	s_xor_b64 s[10:11], exec, -1
	s_and_b64 s[14:15], s[14:15], exec
	s_and_b64 s[18:19], s[18:19], exec
.LBB0_26:
	s_or_b64 exec, exec, s[16:17]
	s_and_saveexec_b64 s[16:17], s[18:19]
	s_cbranch_execz .LBB0_36
.LBB0_27:
	v_ashrrev_i32_e32 v6, 31, v31
	v_lshrrev_b32_e32 v6, 23, v6
	v_add_co_u32_e32 v6, vcc, v30, v6
	v_addc_co_u32_e32 v7, vcc, 0, v31, vcc
	v_ashrrev_i64 v[10:11], 9, v[6:7]
	v_ashrrev_i32_e32 v7, 31, v21
	v_sub_co_u32_e32 v6, vcc, v10, v21
	v_subb_co_u32_e32 v7, vcc, v11, v7, vcc
	v_cmp_gt_i64_e32 vcc, 1, v[6:7]
	s_and_saveexec_b64 s[18:19], vcc
	s_xor_b64 s[18:19], exec, s[18:19]
	s_cbranch_execz .LBB0_33
; %bb.28:
	v_lshlrev_b64 v[10:11], 9, v[10:11]
	v_cmp_ne_u64_e32 vcc, v[30:31], v[10:11]
	s_and_saveexec_b64 s[20:21], vcc
	s_cbranch_execz .LBB0_32
; %bb.29:
	v_lshlrev_b32_e32 v6, 6, v6
	v_sub_co_u32_e32 v12, vcc, v30, v10
	v_sub_u32_e32 v6, v20, v6
	v_subb_co_u32_e32 v13, vcc, v31, v11, vcc
	v_ashrrev_i32_e32 v7, 31, v6
	v_cmp_gt_i64_e32 vcc, v[12:13], v[6:7]
	s_and_b64 exec, exec, vcc
	s_cbranch_execz .LBB0_32
; %bb.30:
	v_add_co_u32_e32 v8, vcc, v10, v8
	v_addc_co_u32_e32 v9, vcc, v11, v9, vcc
	v_add_co_u32_e32 v8, vcc, v8, v6
	v_addc_co_u32_e32 v9, vcc, v9, v7, vcc
	;; [unrolled: 2-line block ×3, first 2 shown]
	flat_load_ubyte v10, v[6:7]
	v_add_co_u32_e32 v6, vcc, v8, v18
	v_addc_co_u32_e32 v7, vcc, v9, v19, vcc
	s_and_b64 vcc, exec, -1
	s_waitcnt vmcnt(0) lgkmcnt(0)
	flat_store_byte v[6:7], v10 glc slc
.LBB0_31:                               ; =>This Inner Loop Header: Depth=1
	s_mov_b64 vcc, vcc
	s_cbranch_vccnz .LBB0_31
.LBB0_32:
	s_or_b64 exec, exec, s[20:21]
                                        ; implicit-def: $vgpr21
                                        ; implicit-def: $vgpr20
                                        ; implicit-def: $vgpr8_vgpr9
.LBB0_33:
	s_andn2_saveexec_b64 s[18:19], s[18:19]
	s_cbranch_execz .LBB0_36
; %bb.34:
	v_lshl_add_u32 v6, v21, 9, v20
	v_ashrrev_i32_e32 v7, 31, v6
	v_add_co_u32_e32 v8, vcc, v8, v6
	v_addc_co_u32_e32 v9, vcc, v9, v7, vcc
	v_add_co_u32_e32 v6, vcc, v8, v18
	v_addc_co_u32_e32 v7, vcc, v9, v19, vcc
	v_add_co_u32_e32 v8, vcc, v8, v16
	v_addc_co_u32_e32 v9, vcc, v9, v17, vcc
	s_and_b64 vcc, exec, 0
.LBB0_35:                               ; =>This Inner Loop Header: Depth=1
	flat_load_ubyte v10, v[8:9] glc slc
	flat_load_ubyte v11, v[8:9] offset:64 glc slc
	flat_load_ubyte v12, v[8:9] offset:128 glc slc
	;; [unrolled: 1-line block ×7, first 2 shown]
	s_waitcnt vmcnt(0) lgkmcnt(0)
	flat_store_byte v[6:7], v10 glc slc
	flat_store_byte v[6:7], v11 offset:64 glc slc
	flat_store_byte v[6:7], v12 offset:128 glc slc
	;; [unrolled: 1-line block ×7, first 2 shown]
	s_mov_b64 vcc, vcc
	s_cbranch_vccz .LBB0_35
.LBB0_36:
	s_or_b64 exec, exec, s[16:17]
	s_and_saveexec_b64 s[16:17], s[14:15]
	s_cbranch_execz .LBB0_39
; %bb.37:
	v_add_co_u32_e32 v4, vcc, v0, v4
	v_addc_co_u32_e32 v5, vcc, v1, v5, vcc
	v_add_co_u32_e32 v0, vcc, v4, v18
	v_addc_co_u32_e32 v1, vcc, v5, v19, vcc
	;; [unrolled: 2-line block ×3, first 2 shown]
	s_and_b64 vcc, exec, 0
.LBB0_38:                               ; =>This Inner Loop Header: Depth=1
	global_load_dwordx4 v[6:9], v[4:5], off glc slc
	s_waitcnt vmcnt(0)
	global_store_dwordx4 v[0:1], v[6:9], off glc slc
	s_mov_b64 vcc, vcc
	s_cbranch_vccz .LBB0_38
.LBB0_39:
	s_or_b64 exec, exec, s[16:17]
	s_and_saveexec_b64 s[14:15], s[10:11]
	s_xor_b64 s[14:15], exec, s[14:15]
	s_cbranch_execz .LBB0_42
; %bb.40:
	v_add_co_u32_e32 v0, vcc, v18, v2
	v_addc_co_u32_e32 v1, vcc, v19, v3, vcc
	v_add_co_u32_e32 v2, vcc, v16, v2
	v_addc_co_u32_e32 v3, vcc, v17, v3, vcc
	s_and_b64 vcc, exec, 0
.LBB0_41:                               ; =>This Inner Loop Header: Depth=1
	global_load_dwordx4 v[4:7], v[2:3], off glc slc
	s_waitcnt vmcnt(0)
	global_store_dwordx4 v[0:1], v[4:7], off glc slc
	s_mov_b64 vcc, vcc
	s_cbranch_vccz .LBB0_41
.LBB0_42:
	s_or_b64 exec, exec, s[6:7]
                                        ; implicit-def: $vgpr30_vgpr31
                                        ; implicit-def: $agpr4_agpr5
                                        ; implicit-def: $vgpr0_vgpr1
                                        ; implicit-def: $vgpr26
                                        ; implicit-def: $vgpr20
                                        ; implicit-def: $vgpr22_vgpr23
                                        ; implicit-def: $vgpr11
                                        ; implicit-def: $vgpr44_vgpr45
                                        ; implicit-def: $vgpr2_vgpr3
                                        ; implicit-def: $vgpr62
                                        ; implicit-def: $agpr1
.LBB0_43:
	s_andn2_saveexec_b64 s[20:21], s[4:5]
	s_cbranch_execz .LBB0_351
; %bb.44:
	flat_load_ushort v5, v[2:3] offset:8
	flat_load_dword v4, v[2:3] offset:4
	s_load_dword s4, s[8:9], 0x0
	v_mov_b32_e32 v13, 0
	v_ashrrev_i32_e32 v27, 31, v26
	v_lshrrev_b32_e32 v1, 26, v27
	v_add_u32_e32 v1, v26, v1
	s_waitcnt lgkmcnt(0)
	s_cmp_lt_u32 s12, s4
	s_cselect_b32 s4, 12, 18
	s_add_u32 s4, s8, s4
	s_addc_u32 s5, s9, 0
	global_load_ushort v14, v13, s[4:5]
	s_trap 2
	ds_read_b32 v12, v0
	v_and_b32_e32 v1, 0xffffffc0, v1
	v_sub_u32_e32 v1, v26, v1
	s_mov_b32 s6, 0
	v_pk_mov_b32 v[8:9], 0, 0
	s_waitcnt lgkmcnt(0)
	v_cmp_gt_i32_e32 vcc, 0, v12
	s_and_b64 vcc, exec, vcc
	v_cmp_eq_u32_e64 s[4:5], 0, v1
	s_waitcnt vmcnt(0)
	v_lshrrev_b64 v[2:3], 31, v[4:5]
	v_and_b32_e32 v4, 3, v2
	s_cbranch_vccnz .LBB0_46
; %bb.45:
	s_trap 2
	ds_read_b64 v[2:3], v0
	v_lshlrev_b64 v[6:7], 3, v[12:13]
	v_and_b32_e32 v5, 0xffff, v4
	s_movk_i32 s6, 0xa8
	s_waitcnt lgkmcnt(0)
	v_add_co_u32_e32 v2, vcc, v2, v6
	v_addc_co_u32_e32 v3, vcc, v3, v7, vcc
	flat_load_dwordx2 v[2:3], v[2:3]
	s_waitcnt vmcnt(0) lgkmcnt(0)
	v_mad_u64_u32 v[2:3], s[6:7], v5, s6, v[2:3]
	flat_load_dwordx2 v[32:33], v[2:3] offset:504
	flat_load_dwordx2 v[34:35], v[2:3] offset:608
	v_add_co_u32_e32 v2, vcc, 0x1f8, v2
	v_addc_co_u32_e32 v3, vcc, 0, v3, vcc
	v_cndmask_b32_e64 v19, 0, v3, s[4:5]
	v_cndmask_b32_e64 v18, 0, v2, s[4:5]
	s_mov_b32 s6, 1
	s_branch .LBB0_47
.LBB0_46:
	v_pk_mov_b32 v[18:19], v[8:9], v[8:9] op_sel:[0,1]
                                        ; implicit-def: $vgpr34_vgpr35
                                        ; implicit-def: $vgpr32_vgpr33
.LBB0_47:
	s_trap 2
	ds_read_b32 v2, v0
	s_waitcnt lgkmcnt(0)
	v_cmp_gt_i32_e32 vcc, 0, v2
	s_cbranch_vccnz .LBB0_49
; %bb.48:
	s_trap 2
	ds_read_b64 v[6:7], v0
	v_mov_b32_e32 v3, 0
	v_lshlrev_b64 v[2:3], 3, v[2:3]
	v_and_b32_e32 v4, 0xffff, v4
	s_movk_i32 s4, 0xa8
	s_waitcnt lgkmcnt(0)
	v_add_co_u32_e32 v2, vcc, v6, v2
	v_addc_co_u32_e32 v3, vcc, v7, v3, vcc
	flat_load_dwordx2 v[2:3], v[2:3]
	v_cmp_eq_u32_e32 vcc, 0, v1
	s_waitcnt vmcnt(0) lgkmcnt(0)
	v_mad_u64_u32 v[2:3], s[4:5], v4, s4, v[2:3]
	flat_load_dwordx2 v[36:37], v[2:3]
	flat_load_dwordx2 v[16:17], v[2:3] offset:104
	v_cndmask_b32_e32 v9, 0, v3, vcc
	v_cndmask_b32_e32 v8, 0, v2, vcc
	s_branch .LBB0_50
.LBB0_49:
                                        ; implicit-def: $vgpr16_vgpr17
                                        ; implicit-def: $vgpr36_vgpr37
.LBB0_50:
	v_subrev_u32_e32 v2, 64, v20
	v_cmp_le_i32_e32 vcc, v2, v26
	v_pk_mov_b32 v[2:3], 0, 0
	v_cmp_gt_i32_e64 s[4:5], s6, v1
	v_accvgpr_write_b32 a17, v3
	s_and_b64 s[22:23], vcc, s[4:5]
	v_accvgpr_write_b32 a16, v2
                                        ; implicit-def: $vgpr38_vgpr39
	s_and_saveexec_b64 s[4:5], s[22:23]
	s_cbranch_execz .LBB0_52
; %bb.51:
	flat_load_dwordx2 a[16:17], v[18:19] offset:56
	flat_load_dwordx2 v[38:39], v[18:19] offset:104
.LBB0_52:
	s_or_b64 exec, exec, s[4:5]
	v_cmp_gt_i32_e64 s[4:5], s6, v26
	v_pk_mov_b32 v[50:51], v[2:3], v[2:3] op_sel:[0,1]
                                        ; implicit-def: $vgpr54_vgpr55
	s_and_saveexec_b64 s[6:7], s[4:5]
	s_cbranch_execz .LBB0_54
; %bb.53:
	flat_load_dwordx2 v[50:51], v[8:9] offset:56
	s_waitcnt vmcnt(0) lgkmcnt(0)
	flat_load_dwordx2 v[54:55], v[50:51] glc
	s_waitcnt vmcnt(0)
	flat_load_dwordx4 v[2:5], v[8:9] offset:96
.LBB0_54:
	s_or_b64 exec, exec, s[6:7]
	v_cmp_ne_u64_e32 vcc, 0, v[30:31]
	v_pk_mov_b32 v[52:53], 0, 0
	s_and_saveexec_b64 s[24:25], vcc
	s_cbranch_execz .LBB0_327
; %bb.55:
	v_ashrrev_i32_e32 v1, 31, v12
	v_lshrrev_b32_e32 v1, 29, v1
	v_add_u32_e32 v1, v12, v1
	v_accvgpr_write_b32 a13, v9
	v_ashrrev_i32_e32 v10, 7, v1
	v_lshlrev_b32_e32 v1, 4, v0
	v_accvgpr_write_b32 a12, v8
	v_and_b32_e32 v8, 0x1fffff0, v1
	v_cvt_f64_u32_e32 v[6:7], 0
	v_ldexp_f64 v[6:7], v[6:7], 32
	v_accvgpr_write_b32 a18, v8
	v_cvt_f64_u32_e32 v[8:9], v8
	v_and_b32_e32 v1, 63, v11
	v_ashrrev_i32_e32 v21, 31, v20
	v_add_f64 v[6:7], v[6:7], v[8:9]
	v_cmp_eq_u32_e64 s[12:13], 0, v1
	v_lshrrev_b32_e32 v1, 26, v21
	v_accvgpr_write_b32 a21, v7
	v_add_u32_e32 v1, v20, v1
	v_accvgpr_write_b32 a20, v6
	v_ashrrev_i32_e32 v6, 6, v1
	v_ashrrev_i32_e32 v1, 31, v6
	v_lshlrev_b32_e32 v46, 3, v26
	v_accvgpr_write_b32 a22, v6
	v_accvgpr_write_b32 a11, v1
	v_ashrrev_i32_e32 v1, 31, v46
	v_add_co_u32_e32 v6, vcc, v42, v46
	v_accvgpr_write_b32 a23, v6
	v_addc_co_u32_e32 v6, vcc, v43, v1, vcc
	v_accvgpr_write_b32 a25, v6
	s_waitcnt vmcnt(0) lgkmcnt(0)
	v_accvgpr_read_b32 v6, a16
	v_accvgpr_read_b32 v7, a17
	v_cmp_ne_u64_e64 s[14:15], 0, v[6:7]
	v_add_co_u32_e32 v47, vcc, v44, v46
	v_accvgpr_read_b32 v7, a5
	v_accvgpr_write_b32 a19, v1
	v_addc_co_u32_e32 v1, vcc, v45, v1, vcc
	v_accvgpr_read_b32 v6, a4
	v_and_b32_e32 v0, 0x1fffff, v0
	v_add_co_u32_e32 v58, vcc, v47, v6
	v_lshlrev_b32_e32 v0, 7, v0
	v_accvgpr_write_b32 a27, v1
	v_addc_co_u32_e32 v59, vcc, v1, v7, vcc
	v_lshlrev_b32_e32 v1, 3, v58
	v_accvgpr_write_b32 a29, v0
	v_lshlrev_b32_e32 v0, 6, v20
	v_accvgpr_write_b32 a28, v1
	v_accvgpr_write_b32 a30, v0
	v_lshlrev_b64 v[0:1], 4, v[26:27]
	v_add_co_u32_e32 v0, vcc, v36, v0
	v_accvgpr_write_b32 a14, v18
	v_lshlrev_b32_e32 v56, 3, v20
	s_cmp_lt_i32 s52, 3
	v_accvgpr_write_b32 a6, v42
	v_accvgpr_write_b32 a31, v0
	v_addc_co_u32_e32 v0, vcc, v37, v1, vcc
	v_pk_mov_b32 v[28:29], 0, 0
	v_accvgpr_mov_b32 a35, a5
	v_accvgpr_write_b32 a15, v19
	v_mov_b32_e32 v41, 0
	s_mov_b64 s[26:27], 0
	v_cmp_ne_u64_e64 s[6:7], 0, v[50:51]
	v_cmp_ne_u64_e64 s[8:9], 0, v[2:3]
	v_cmp_ne_u32_e64 s[10:11], 64, v20
	v_accvgpr_write_b32 a10, v14
	v_cmp_ne_u32_sdwa s[28:29], v14, v20 src0_sel:WORD_0 src1_sel:DWORD
	v_accvgpr_write_b32 a0, v11
	v_ashrrev_i32_e32 v57, 31, v56
	s_cselect_b64 s[30:31], -1, 0
	s_add_i32 s53, s52, -2
	v_accvgpr_write_b32 a7, v43
	v_accvgpr_write_b32 a8, v44
	;; [unrolled: 1-line block ×4, first 2 shown]
	v_lshlrev_b64 v[60:61], 4, v[20:21]
	s_movk_i32 s54, 0x2710
	s_mov_b64 s[34:35], 0x7ffffff8
	v_accvgpr_mov_b32 a34, a4
	v_mov_b32_e32 v27, 0
	v_pk_mov_b32 v[52:53], v[28:29], v[28:29] op_sel:[0,1]
	s_branch .LBB0_57
.LBB0_56:                               ;   in Loop: Header=BB0_57 Depth=1
	s_or_b64 exec, exec, s[16:17]
	v_add_co_u32_e32 v34, vcc, 1, v34
	v_addc_co_u32_e32 v35, vcc, 0, v35, vcc
	v_accvgpr_read_b32 v0, a18
	v_add_co_u32_e32 v28, vcc, v28, v0
	v_addc_co_u32_e32 v29, vcc, 0, v29, vcc
	v_accvgpr_read_b32 v6, a34
	v_accvgpr_read_b32 v7, a35
	v_add_co_u32_e32 v6, vcc, v6, v0
	v_addc_co_u32_e32 v7, vcc, 0, v7, vcc
	v_accvgpr_read_b32 v31, a3
	v_accvgpr_write_b32 a35, v7
	v_accvgpr_read_b32 v30, a2
	v_accvgpr_write_b32 a34, v6
	v_accvgpr_read_b32 v1, a28
	v_accvgpr_read_b32 v6, a29
	v_cmp_ge_u64_e32 vcc, v[28:29], v[30:31]
	v_add_u32_e32 v1, v1, v6
	s_or_b64 s[26:27], vcc, s[26:27]
	v_add_co_u32_e32 v58, vcc, v58, v0
	v_accvgpr_write_b32 a28, v1
	v_addc_co_u32_e32 v59, vcc, 0, v59, vcc
	s_andn2_b64 exec, exec, s[26:27]
	s_cbranch_execz .LBB0_326
.LBB0_57:                               ; =>This Loop Header: Depth=1
                                        ;     Child Loop BB0_65 Depth 2
                                        ;     Child Loop BB0_82 Depth 2
	;; [unrolled: 1-line block ×9, first 2 shown]
                                        ;       Child Loop BB0_192 Depth 3
                                        ;       Child Loop BB0_208 Depth 3
	;; [unrolled: 1-line block ×3, first 2 shown]
                                        ;         Child Loop BB0_225 Depth 4
                                        ;       Child Loop BB0_259 Depth 3
                                        ;       Child Loop BB0_183 Depth 3
                                        ;     Child Loop BB0_276 Depth 2
                                        ;       Child Loop BB0_280 Depth 3
                                        ;     Child Loop BB0_314 Depth 2
	flat_load_dword v6, v[22:23]
	v_sub_co_u32_e32 v7, vcc, v30, v28
	v_accvgpr_read_b32 v13, a5
	v_subb_co_u32_e32 v8, vcc, v31, v29, vcc
	v_accvgpr_read_b32 v12, a4
	v_accvgpr_read_b32 v0, a20
	v_add_co_u32_e32 v18, vcc, v28, v12
	v_cvt_f64_u32_e32 v[8:9], v8
	v_accvgpr_read_b32 v1, a21
	v_addc_co_u32_e32 v19, vcc, v29, v13, vcc
	v_cvt_f64_u32_e32 v[12:13], v7
	v_ldexp_f64 v[8:9], v[8:9], 32
	v_max_f64 v[0:1], v[0:1], v[0:1]
	v_add_f64 v[8:9], v[8:9], v[12:13]
	v_min_f64 v[0:1], v[0:1], v[8:9]
	v_cvt_i32_f64_e32 v0, v[0:1]
	v_max_i32_e32 v24, 0, v0
	v_add_u32_e32 v0, 7, v24
	v_accvgpr_read_b32 v45, a9
	v_ashrrev_i32_e32 v1, 31, v0
	v_accvgpr_read_b32 v44, a8
	v_lshrrev_b32_e32 v1, 29, v1
	v_add_co_u32_e32 v14, vcc, v44, v18
	v_add_u32_e32 v9, v0, v1
	v_accvgpr_read_b32 v0, a1
	v_accvgpr_read_b32 v42, a6
	v_addc_co_u32_e32 v15, vcc, v45, v19, vcc
	v_accvgpr_read_b32 v43, a7
	v_accvgpr_write_b32 a2, v30
	v_accvgpr_write_b32 a37, v19
	;; [unrolled: 1-line block ×4, first 2 shown]
	s_waitcnt vmcnt(0) lgkmcnt(0)
	v_ashrrev_i32_e32 v8, 31, v6
	v_mul_lo_u32 v7, v0, v6
	v_mad_u64_u32 v[0:1], s[16:17], v62, v6, v[18:19]
	v_mul_lo_u32 v8, v62, v8
	v_add3_u32 v1, v7, v1, v8
	v_add_co_u32_e32 v0, vcc, v42, v0
	v_addc_co_u32_e32 v1, vcc, v43, v1, vcc
	v_cmp_ne_u64_e32 vcc, v[14:15], v[0:1]
	v_ashrrev_i32_e32 v0, 3, v9
	v_accvgpr_write_b32 a33, v0
	s_and_saveexec_b64 s[16:17], vcc
	s_xor_b64 s[18:19], exec, s[16:17]
	s_cbranch_execz .LBB0_123
; %bb.58:                               ;   in Loop: Header=BB0_57 Depth=1
	s_and_saveexec_b64 s[16:17], s[6:7]
	s_cbranch_execz .LBB0_74
; %bb.59:                               ;   in Loop: Header=BB0_57 Depth=1
	v_add_co_u32_e32 v0, vcc, 1, v4
	v_addc_co_u32_e32 v1, vcc, 0, v5, vcc
	v_add_co_u32_e32 v12, vcc, 8, v54
	v_addc_co_u32_e32 v13, vcc, 0, v55, vcc
	v_cmp_lt_u64_e32 vcc, v[12:13], v[0:1]
	s_and_saveexec_b64 s[36:37], vcc
	s_cbranch_execz .LBB0_71
; %bb.60:                               ;   in Loop: Header=BB0_57 Depth=1
	s_sleep 1
	flat_load_dwordx2 v[54:55], v[50:51] glc
	v_cmp_eq_u32_e32 vcc, 0, v27
	s_and_saveexec_b64 s[38:39], vcc
	s_cbranch_execz .LBB0_70
; %bb.61:                               ;   in Loop: Header=BB0_57 Depth=1
	v_cndmask_b32_e64 v5, 0, 1, vcc
	s_mov_b64 s[40:41], 0
                                        ; implicit-def: $sgpr42_sgpr43
	s_branch .LBB0_65
.LBB0_62:                               ;   in Loop: Header=BB0_65 Depth=2
	s_or_b64 exec, exec, s[50:51]
	s_orn2_b64 s[48:49], s[48:49], exec
.LBB0_63:                               ;   in Loop: Header=BB0_65 Depth=2
	s_or_b64 exec, exec, s[46:47]
	s_xor_b64 vcc, s[48:49], -1
	s_andn2_b64 s[42:43], s[42:43], exec
	s_and_b64 vcc, vcc, exec
	s_or_b64 s[42:43], s[42:43], vcc
.LBB0_64:                               ;   in Loop: Header=BB0_65 Depth=2
	s_or_b64 exec, exec, s[44:45]
	s_and_b64 vcc, exec, s[42:43]
	s_or_b64 s[40:41], vcc, s[40:41]
	s_andn2_b64 exec, exec, s[40:41]
	s_cbranch_execz .LBB0_69
.LBB0_65:                               ;   Parent Loop BB0_57 Depth=1
                                        ; =>  This Inner Loop Header: Depth=2
	s_waitcnt vmcnt(0) lgkmcnt(0)
	v_add_co_u32_e32 v12, vcc, 8, v54
	v_addc_co_u32_e32 v13, vcc, 0, v55, vcc
	v_cmp_lt_u64_e32 vcc, v[12:13], v[0:1]
	v_mov_b32_e32 v27, 0
	s_or_b64 s[42:43], s[42:43], exec
	s_and_saveexec_b64 s[44:45], vcc
	s_cbranch_execz .LBB0_64
; %bb.66:                               ;   in Loop: Header=BB0_65 Depth=2
	s_sleep 1
	flat_load_dwordx2 v[54:55], v[50:51] glc
	v_add_u32_e32 v5, 1, v5
	v_cmp_eq_u32_e32 vcc, s54, v5
	s_mov_b64 s[48:49], -1
	v_mov_b32_e32 v27, 0
	s_and_saveexec_b64 s[46:47], vcc
	s_cbranch_execz .LBB0_63
; %bb.67:                               ;   in Loop: Header=BB0_65 Depth=2
	s_trap 2
	ds_read_b64 v[12:13], v0
	v_mov_b32_e32 v5, 0
	v_mov_b32_e32 v27, 0
	s_waitcnt vmcnt(0) lgkmcnt(0)
	flat_load_dword v9, v[12:13] glc
	s_waitcnt vmcnt(0) lgkmcnt(0)
	buffer_invl2
	buffer_wbinvl1_vol
	v_cmp_ne_u32_e32 vcc, 0, v9
	s_and_saveexec_b64 s[50:51], vcc
	s_cbranch_execz .LBB0_62
; %bb.68:                               ;   in Loop: Header=BB0_65 Depth=2
	v_mov_b32_e32 v27, 1
	s_xor_b64 s[48:49], exec, -1
	ds_write_b32 v0, v9
	s_trap 2
	s_branch .LBB0_62
.LBB0_69:                               ;   in Loop: Header=BB0_57 Depth=1
	s_or_b64 exec, exec, s[40:41]
.LBB0_70:                               ;   in Loop: Header=BB0_57 Depth=1
	s_or_b64 exec, exec, s[38:39]
.LBB0_71:                               ;   in Loop: Header=BB0_57 Depth=1
	s_or_b64 exec, exec, s[36:37]
	s_and_saveexec_b64 s[36:37], s[8:9]
	s_cbranch_execz .LBB0_73
; %bb.72:                               ;   in Loop: Header=BB0_57 Depth=1
	v_and_b32_e32 v40, 0x7ffffff8, v4
	v_cmp_eq_u64_e32 vcc, s[34:35], v[40:41]
	v_accvgpr_read_b32 v5, a33
	v_cndmask_b32_e32 v5, v5, v10, vcc
	v_lshlrev_b32_e32 v12, 4, v5
	v_and_b32_e32 v4, 7, v4
	v_ashrrev_i32_e32 v13, 31, v12
	v_mad_u64_u32 v[4:5], vcc, v4, 24, v[2:3]
	flat_store_dwordx2 v[4:5], v[12:13] offset:8
	s_waitcnt vmcnt(0)
.LBB0_73:                               ;   in Loop: Header=BB0_57 Depth=1
	s_or_b64 exec, exec, s[36:37]
	v_pk_mov_b32 v[4:5], v[0:1], v[0:1] op_sel:[0,1]
.LBB0_74:                               ;   in Loop: Header=BB0_57 Depth=1
	s_or_b64 exec, exec, s[16:17]
	v_mad_u64_u32 v[12:13], s[16:17], v62, v6, 0
	v_add3_u32 v6, v13, v8, v7
	s_and_saveexec_b64 s[16:17], s[10:11]
	s_cbranch_execz .LBB0_93
; %bb.75:                               ;   in Loop: Header=BB0_57 Depth=1
	s_and_saveexec_b64 vcc, s[28:29]
	s_xor_b64 s[36:37], exec, vcc
	s_cbranch_execz .LBB0_90
; %bb.76:                               ;   in Loop: Header=BB0_57 Depth=1
	s_and_saveexec_b64 s[38:39], s[12:13]
	s_cbranch_execz .LBB0_89
; %bb.77:                               ;   in Loop: Header=BB0_57 Depth=1
	s_mov_b64 s[42:43], exec
	v_mbcnt_lo_u32_b32 v0, s42, 0
	v_mbcnt_hi_u32_b32 v0, s43, v0
	v_cmp_eq_u32_e32 vcc, 0, v0
	s_waitcnt vmcnt(0) lgkmcnt(0)
	buffer_wbinvl1_vol
	s_and_saveexec_b64 s[40:41], vcc
	s_cbranch_execz .LBB0_79
; %bb.78:                               ;   in Loop: Header=BB0_57 Depth=1
	s_bcnt1_i32_b64 vcc_lo, s[42:43]
	v_mov_b32_e32 v40, vcc_lo
	ds_add_u64 v0, v[40:41]
	s_trap 2
.LBB0_79:                               ;   in Loop: Header=BB0_57 Depth=1
	s_or_b64 exec, exec, s[40:41]
	s_trap 2
	ds_read_b64 v[0:1], v0
	v_accvgpr_read_b32 v8, a22
	v_add_co_u32_e32 v52, vcc, v52, v8
	v_accvgpr_read_b32 v7, a11
	v_addc_co_u32_e32 v53, vcc, v53, v7, vcc
	s_waitcnt lgkmcnt(0)
	v_cmp_lt_u64_e32 vcc, v[0:1], v[52:53]
	s_and_saveexec_b64 s[40:41], vcc
	s_cbranch_execz .LBB0_88
; %bb.80:                               ;   in Loop: Header=BB0_57 Depth=1
	s_mov_b32 s55, 0
	s_mov_b64 s[42:43], 0
                                        ; implicit-def: $sgpr44_sgpr45
                                        ; implicit-def: $sgpr46_sgpr47
	s_branch .LBB0_82
.LBB0_81:                               ;   in Loop: Header=BB0_82 Depth=2
	s_or_b64 exec, exec, s[50:51]
	s_and_b64 vcc, exec, vcc
	s_or_b64 s[42:43], vcc, s[42:43]
	s_andn2_b64 vcc, s[44:45], exec
	s_and_b64 s[44:45], s[46:47], exec
	s_or_b64 s[44:45], vcc, s[44:45]
	s_andn2_b64 exec, exec, s[42:43]
	s_cbranch_execz .LBB0_86
.LBB0_82:                               ;   Parent Loop BB0_57 Depth=1
                                        ; =>  This Inner Loop Header: Depth=2
	s_add_i32 s55, s55, 1
	s_cmpk_lg_i32 s55, 0x2710
	s_cselect_b64 s[48:49], -1, 0
	s_and_b64 vcc, exec, s[48:49]
                                        ; implicit-def: $sgpr50_sgpr51
	s_cbranch_vccnz .LBB0_84
; %bb.83:                               ;   in Loop: Header=BB0_82 Depth=2
	s_trap 2
	ds_read_b64 v[0:1], v0
	s_andn2_b64 s[48:49], s[48:49], exec
	s_mov_b32 s55, 0
	s_mov_b64 s[50:51], -1
	s_waitcnt lgkmcnt(0)
	flat_load_dword v0, v[0:1] glc
	s_waitcnt vmcnt(0) lgkmcnt(0)
	buffer_invl2
	buffer_wbinvl1_vol
	v_cmp_eq_u32_e32 vcc, 0, v0
	s_and_b64 vcc, vcc, exec
	s_or_b64 s[48:49], s[48:49], vcc
.LBB0_84:                               ;   in Loop: Header=BB0_82 Depth=2
	s_andn2_b64 s[46:47], s[46:47], exec
	s_and_b64 s[50:51], s[50:51], exec
	s_mov_b64 vcc, -1
	s_or_b64 s[46:47], s[46:47], s[50:51]
	s_and_saveexec_b64 s[50:51], s[48:49]
	s_cbranch_execz .LBB0_81
; %bb.85:                               ;   in Loop: Header=BB0_82 Depth=2
	s_sleep 1
	s_trap 2
	ds_read_b64 v[0:1], v0
	s_andn2_b64 s[46:47], s[46:47], exec
	s_waitcnt lgkmcnt(0)
	v_cmp_ge_u64_e32 vcc, v[0:1], v[52:53]
	s_orn2_b64 vcc, vcc, exec
	s_branch .LBB0_81
.LBB0_86:                               ;   in Loop: Header=BB0_57 Depth=1
	s_or_b64 exec, exec, s[42:43]
	s_and_saveexec_b64 vcc, s[44:45]
	s_xor_b64 vcc, exec, vcc
	s_cbranch_execz .LBB0_88
; %bb.87:                               ;   in Loop: Header=BB0_57 Depth=1
	v_mov_b32_e32 v0, 1
	ds_write_b32 v0, v0
	s_trap 2
.LBB0_88:                               ;   in Loop: Header=BB0_57 Depth=1
	s_or_b64 exec, exec, s[40:41]
	;;#ASMSTART
	s_wakeup
	;;#ASMEND
.LBB0_89:                               ;   in Loop: Header=BB0_57 Depth=1
	s_or_b64 exec, exec, s[38:39]
.LBB0_90:                               ;   in Loop: Header=BB0_57 Depth=1
	s_andn2_saveexec_b64 vcc, s[36:37]
	s_cbranch_execz .LBB0_92
; %bb.91:                               ;   in Loop: Header=BB0_57 Depth=1
	s_waitcnt vmcnt(0) lgkmcnt(0)
	buffer_wbinvl1_vol
	s_barrier
.LBB0_92:                               ;   in Loop: Header=BB0_57 Depth=1
	s_or_b64 exec, exec, vcc
.LBB0_93:                               ;   in Loop: Header=BB0_57 Depth=1
	s_or_b64 exec, exec, s[16:17]
	v_sub_u32_e32 v1, v24, v46
	v_cmp_lt_i32_e32 vcc, 0, v1
	v_mov_b32_e32 v0, v26
	s_and_saveexec_b64 s[36:37], vcc
	s_cbranch_execz .LBB0_119
; %bb.94:                               ;   in Loop: Header=BB0_57 Depth=1
	v_and_b32_e32 v0, 7, v16
	v_mov_b32_e32 v7, v16
	v_add_co_u32_e64 v8, vcc, 0, 0
	v_mul_lo_u32 v14, v0, v10
	v_addc_co_u32_e32 v13, vcc, 1, v7, vcc
	v_accvgpr_read_b32 v0, a23
	v_ashrrev_i32_e32 v15, 31, v14
	v_add_co_u32_e32 v9, vcc, v0, v12
	v_accvgpr_read_b32 v0, a25
	v_addc_co_u32_e32 v11, vcc, v0, v6, vcc
	v_lshlrev_b64 v[6:7], 4, v[14:15]
	v_accvgpr_read_b32 v0, a31
	v_add_co_u32_e32 v18, vcc, v0, v6
	v_accvgpr_read_b32 v0, a32
	v_accvgpr_read_b32 v30, a34
	v_addc_co_u32_e32 v19, vcc, v0, v7, vcc
	s_mov_b64 s[38:39], 0
	v_accvgpr_read_b32 v21, a28
	v_accvgpr_read_b32 v31, a35
	v_mov_b32_e32 v0, v26
	s_branch .LBB0_96
.LBB0_95:                               ;   in Loop: Header=BB0_96 Depth=2
	v_add_co_u32_e32 v30, vcc, v30, v56
	v_sub_u32_e32 v1, v1, v56
	v_addc_co_u32_e32 v31, vcc, v31, v57, vcc
	v_cmp_gt_i32_e32 vcc, 1, v1
	v_accvgpr_read_b32 v6, a30
	s_or_b64 s[38:39], vcc, s[38:39]
	v_add_co_u32_e32 v18, vcc, v18, v60
	v_add_u32_e32 v0, v0, v20
	v_add_u32_e32 v21, v21, v6
	v_addc_co_u32_e32 v19, vcc, v19, v61, vcc
	s_andn2_b64 exec, exec, s[38:39]
	s_cbranch_execz .LBB0_118
.LBB0_96:                               ;   Parent Loop BB0_57 Depth=1
                                        ; =>  This Inner Loop Header: Depth=2
	v_add_co_u32_e32 v14, vcc, v47, v30
	v_accvgpr_read_b32 v6, a27
	v_addc_co_u32_e32 v7, vcc, v6, v31, vcc
	v_and_b32_e32 v6, -4, v14
	global_load_dword v12, v[6:7], off glc slc
	v_min_u32_e32 v15, 8, v1
	v_and_b32_e32 v14, 3, v14
	v_add_co_u32_e32 v14, vcc, v14, v15
	v_addc_co_u32_e64 v15, s[16:17], 0, 0, vcc
	v_mov_b32_e32 v48, 0
	v_cmp_lt_u64_e32 vcc, 4, v[14:15]
	v_mov_b32_e32 v49, 0
	s_and_saveexec_b64 s[16:17], vcc
	s_cbranch_execz .LBB0_98
; %bb.97:                               ;   in Loop: Header=BB0_96 Depth=2
	global_load_dword v49, v[6:7], off offset:4 glc slc
.LBB0_98:                               ;   in Loop: Header=BB0_96 Depth=2
	s_or_b64 exec, exec, s[16:17]
	v_cmp_lt_u64_e32 vcc, 8, v[14:15]
	s_and_saveexec_b64 s[16:17], vcc
	s_cbranch_execz .LBB0_100
; %bb.99:                               ;   in Loop: Header=BB0_96 Depth=2
	global_load_dword v48, v[6:7], off offset:8 glc slc
.LBB0_100:                              ;   in Loop: Header=BB0_96 Depth=2
	s_or_b64 exec, exec, s[16:17]
	v_add_co_u32_e32 v6, vcc, v9, v30
	v_addc_co_u32_e32 v7, vcc, v11, v31, vcc
	s_waitcnt vmcnt(0)
	v_alignbit_b32 v44, v49, v12, v21
	v_alignbit_b32 v45, v48, v49, v21
	v_or_b32_e32 v12, v8, v44
	v_or_b32_e32 v14, v8, v45
	v_mov_b32_e32 v15, v13
	v_cmp_lt_u32_e32 vcc, 7, v1
	global_store_dwordx4 v[18:19], v[12:15], off
	s_nop 0
	v_cndmask_b32_e64 v12, 0, 1, vcc
	;;#ASMSTART
	;;#ASMEND
	v_cmp_ne_u32_e64 s[16:17], 0, v12
	s_cmp_lg_u64 s[16:17], exec
	s_mov_b64 s[16:17], -1
	s_cbranch_scc0 .LBB0_110
; %bb.101:                              ;   in Loop: Header=BB0_96 Depth=2
	v_cmp_ne_u32_e64 s[16:17], 1, v1
	flat_store_byte v[6:7], v44
	s_and_saveexec_b64 s[40:41], s[16:17]
	s_cbranch_execnz .LBB0_112
; %bb.102:                              ;   in Loop: Header=BB0_96 Depth=2
	s_or_b64 exec, exec, s[40:41]
	v_cmp_lt_u32_e64 s[16:17], 2, v1
	s_and_saveexec_b64 s[40:41], s[16:17]
	s_cbranch_execnz .LBB0_113
.LBB0_103:                              ;   in Loop: Header=BB0_96 Depth=2
	s_or_b64 exec, exec, s[40:41]
	v_cmp_lt_u32_e64 s[16:17], 3, v1
	s_and_saveexec_b64 s[40:41], s[16:17]
	s_cbranch_execnz .LBB0_114
.LBB0_104:                              ;   in Loop: Header=BB0_96 Depth=2
	s_or_b64 exec, exec, s[40:41]
	v_cmp_lt_u32_e64 s[16:17], 4, v1
	s_and_saveexec_b64 s[40:41], s[16:17]
	s_cbranch_execnz .LBB0_115
.LBB0_105:                              ;   in Loop: Header=BB0_96 Depth=2
	s_or_b64 exec, exec, s[40:41]
	v_cmp_lt_u32_e64 s[16:17], 5, v1
	s_and_saveexec_b64 s[40:41], s[16:17]
	s_cbranch_execnz .LBB0_116
.LBB0_106:                              ;   in Loop: Header=BB0_96 Depth=2
	s_or_b64 exec, exec, s[40:41]
	v_cmp_lt_u32_e64 s[16:17], 6, v1
	s_and_saveexec_b64 s[40:41], s[16:17]
	s_cbranch_execnz .LBB0_117
.LBB0_107:                              ;   in Loop: Header=BB0_96 Depth=2
	s_or_b64 exec, exec, s[40:41]
	s_and_saveexec_b64 s[16:17], vcc
	s_cbranch_execz .LBB0_109
.LBB0_108:                              ;   in Loop: Header=BB0_96 Depth=2
	v_lshrrev_b32_e32 v12, 24, v45
	flat_store_byte v[6:7], v12 offset:7
.LBB0_109:                              ;   in Loop: Header=BB0_96 Depth=2
	s_or_b64 exec, exec, s[16:17]
	s_mov_b64 s[16:17], 0
.LBB0_110:                              ;   in Loop: Header=BB0_96 Depth=2
	s_and_b64 vcc, exec, s[16:17]
	s_cbranch_vccz .LBB0_95
; %bb.111:                              ;   in Loop: Header=BB0_96 Depth=2
	global_store_dwordx2 v[6:7], v[44:45], off
	s_branch .LBB0_95
.LBB0_112:                              ;   in Loop: Header=BB0_96 Depth=2
	v_lshrrev_b32_e32 v12, 8, v44
	flat_store_byte v[6:7], v12 offset:1
	s_or_b64 exec, exec, s[40:41]
	v_cmp_lt_u32_e64 s[16:17], 2, v1
	s_and_saveexec_b64 s[40:41], s[16:17]
	s_cbranch_execz .LBB0_103
.LBB0_113:                              ;   in Loop: Header=BB0_96 Depth=2
	flat_store_byte_d16_hi v[6:7], v44 offset:2
	s_or_b64 exec, exec, s[40:41]
	v_cmp_lt_u32_e64 s[16:17], 3, v1
	s_and_saveexec_b64 s[40:41], s[16:17]
	s_cbranch_execz .LBB0_104
.LBB0_114:                              ;   in Loop: Header=BB0_96 Depth=2
	v_lshrrev_b32_e32 v12, 24, v44
	flat_store_byte v[6:7], v12 offset:3
	s_or_b64 exec, exec, s[40:41]
	v_cmp_lt_u32_e64 s[16:17], 4, v1
	s_and_saveexec_b64 s[40:41], s[16:17]
	s_cbranch_execz .LBB0_105
.LBB0_115:                              ;   in Loop: Header=BB0_96 Depth=2
	flat_store_byte v[6:7], v45 offset:4
	s_or_b64 exec, exec, s[40:41]
	v_cmp_lt_u32_e64 s[16:17], 5, v1
	s_and_saveexec_b64 s[40:41], s[16:17]
	s_cbranch_execz .LBB0_106
.LBB0_116:                              ;   in Loop: Header=BB0_96 Depth=2
	v_lshrrev_b32_e32 v12, 8, v45
	flat_store_byte v[6:7], v12 offset:5
	s_or_b64 exec, exec, s[40:41]
	v_cmp_lt_u32_e64 s[16:17], 6, v1
	s_and_saveexec_b64 s[40:41], s[16:17]
	s_cbranch_execz .LBB0_107
.LBB0_117:                              ;   in Loop: Header=BB0_96 Depth=2
	flat_store_byte_d16_hi v[6:7], v45 offset:6
	s_or_b64 exec, exec, s[40:41]
	s_and_saveexec_b64 s[16:17], vcc
	s_cbranch_execnz .LBB0_108
	s_branch .LBB0_109
.LBB0_118:                              ;   in Loop: Header=BB0_57 Depth=1
	s_or_b64 exec, exec, s[38:39]
.LBB0_119:                              ;   in Loop: Header=BB0_57 Depth=1
	s_or_b64 exec, exec, s[36:37]
	v_and_b32_e32 v40, 0x7ffffff8, v16
	v_cmp_eq_u64_e32 vcc, s[34:35], v[40:41]
	v_cmp_gt_i32_e64 s[16:17], v10, v0
	s_and_b64 s[16:17], vcc, s[16:17]
	s_and_saveexec_b64 s[36:37], s[16:17]
	s_cbranch_execz .LBB0_122
; %bb.120:                              ;   in Loop: Header=BB0_57 Depth=1
	v_and_b32_e32 v1, 7, v16
	v_mul_lo_u32 v6, v1, v10
	v_mov_b32_e32 v1, v16
	v_add_co_u32_e64 v12, vcc, 0, 0
	v_ashrrev_i32_e32 v7, 31, v6
	v_addc_co_u32_e32 v13, vcc, 1, v1, vcc
	v_ashrrev_i32_e32 v1, 31, v0
	v_lshlrev_b64 v[8:9], 4, v[0:1]
	v_lshlrev_b64 v[6:7], 4, v[6:7]
	v_add_co_u32_e32 v1, vcc, v8, v6
	v_addc_co_u32_e32 v7, vcc, v9, v7, vcc
	v_add_co_u32_e32 v6, vcc, v36, v1
	v_addc_co_u32_e32 v7, vcc, v37, v7, vcc
	s_mov_b64 s[38:39], 0
.LBB0_121:                              ;   Parent Loop BB0_57 Depth=1
                                        ; =>  This Inner Loop Header: Depth=2
	v_mov_b32_e32 v14, v12
	v_mov_b32_e32 v15, v13
	v_add_u32_e32 v0, v0, v20
	global_store_dwordx4 v[6:7], v[12:15], off
	v_cmp_ge_i32_e32 vcc, v0, v10
	v_add_co_u32_e64 v6, s[16:17], v6, v60
	s_or_b64 s[38:39], vcc, s[38:39]
	v_addc_co_u32_e64 v7, vcc, v7, v61, s[16:17]
	s_andn2_b64 exec, exec, s[38:39]
	s_cbranch_execnz .LBB0_121
.LBB0_122:                              ;   in Loop: Header=BB0_57 Depth=1
	s_or_b64 exec, exec, s[36:37]
.LBB0_123:                              ;   in Loop: Header=BB0_57 Depth=1
	s_andn2_saveexec_b64 s[18:19], s[18:19]
	s_cbranch_execz .LBB0_171
; %bb.124:                              ;   in Loop: Header=BB0_57 Depth=1
	s_and_saveexec_b64 s[16:17], s[6:7]
	s_cbranch_execz .LBB0_140
; %bb.125:                              ;   in Loop: Header=BB0_57 Depth=1
	v_add_co_u32_e32 v0, vcc, 1, v4
	v_addc_co_u32_e32 v1, vcc, 0, v5, vcc
	s_waitcnt vmcnt(0) lgkmcnt(0)
	v_add_co_u32_e32 v6, vcc, 8, v54
	v_addc_co_u32_e32 v7, vcc, 0, v55, vcc
	v_cmp_lt_u64_e32 vcc, v[6:7], v[0:1]
	s_and_saveexec_b64 s[36:37], vcc
	s_cbranch_execz .LBB0_137
; %bb.126:                              ;   in Loop: Header=BB0_57 Depth=1
	s_sleep 1
	flat_load_dwordx2 v[54:55], v[50:51] glc
	v_cmp_eq_u32_e32 vcc, 0, v27
	s_and_saveexec_b64 s[38:39], vcc
	s_cbranch_execz .LBB0_136
; %bb.127:                              ;   in Loop: Header=BB0_57 Depth=1
	v_cndmask_b32_e64 v5, 0, 1, vcc
	s_mov_b64 s[40:41], 0
                                        ; implicit-def: $sgpr42_sgpr43
	s_branch .LBB0_131
.LBB0_128:                              ;   in Loop: Header=BB0_131 Depth=2
	s_or_b64 exec, exec, s[50:51]
	s_orn2_b64 s[48:49], s[48:49], exec
.LBB0_129:                              ;   in Loop: Header=BB0_131 Depth=2
	s_or_b64 exec, exec, s[46:47]
	s_xor_b64 vcc, s[48:49], -1
	s_andn2_b64 s[42:43], s[42:43], exec
	s_and_b64 vcc, vcc, exec
	s_or_b64 s[42:43], s[42:43], vcc
.LBB0_130:                              ;   in Loop: Header=BB0_131 Depth=2
	s_or_b64 exec, exec, s[44:45]
	s_and_b64 vcc, exec, s[42:43]
	s_or_b64 s[40:41], vcc, s[40:41]
	s_andn2_b64 exec, exec, s[40:41]
	s_cbranch_execz .LBB0_135
.LBB0_131:                              ;   Parent Loop BB0_57 Depth=1
                                        ; =>  This Inner Loop Header: Depth=2
	s_waitcnt vmcnt(0) lgkmcnt(0)
	v_add_co_u32_e32 v6, vcc, 8, v54
	v_addc_co_u32_e32 v7, vcc, 0, v55, vcc
	v_cmp_lt_u64_e32 vcc, v[6:7], v[0:1]
	v_mov_b32_e32 v27, 0
	s_or_b64 s[42:43], s[42:43], exec
	s_and_saveexec_b64 s[44:45], vcc
	s_cbranch_execz .LBB0_130
; %bb.132:                              ;   in Loop: Header=BB0_131 Depth=2
	s_sleep 1
	flat_load_dwordx2 v[54:55], v[50:51] glc
	v_add_u32_e32 v5, 1, v5
	v_cmp_eq_u32_e32 vcc, s54, v5
	s_mov_b64 s[48:49], -1
	v_mov_b32_e32 v27, 0
	s_and_saveexec_b64 s[46:47], vcc
	s_cbranch_execz .LBB0_129
; %bb.133:                              ;   in Loop: Header=BB0_131 Depth=2
	s_trap 2
	ds_read_b64 v[6:7], v0
	v_mov_b32_e32 v5, 0
	v_mov_b32_e32 v27, 0
	s_waitcnt vmcnt(0) lgkmcnt(0)
	flat_load_dword v6, v[6:7] glc
	s_waitcnt vmcnt(0) lgkmcnt(0)
	buffer_invl2
	buffer_wbinvl1_vol
	v_cmp_ne_u32_e32 vcc, 0, v6
	s_and_saveexec_b64 s[50:51], vcc
	s_cbranch_execz .LBB0_128
; %bb.134:                              ;   in Loop: Header=BB0_131 Depth=2
	v_mov_b32_e32 v27, 1
	s_xor_b64 s[48:49], exec, -1
	ds_write_b32 v0, v6
	s_trap 2
	s_branch .LBB0_128
.LBB0_135:                              ;   in Loop: Header=BB0_57 Depth=1
	s_or_b64 exec, exec, s[40:41]
.LBB0_136:                              ;   in Loop: Header=BB0_57 Depth=1
	s_or_b64 exec, exec, s[38:39]
.LBB0_137:                              ;   in Loop: Header=BB0_57 Depth=1
	s_or_b64 exec, exec, s[36:37]
	s_and_saveexec_b64 s[36:37], s[8:9]
	s_cbranch_execz .LBB0_139
; %bb.138:                              ;   in Loop: Header=BB0_57 Depth=1
	v_and_b32_e32 v40, 0x7ffffff8, v4
	v_cmp_eq_u64_e32 vcc, s[34:35], v[40:41]
	v_accvgpr_read_b32 v5, a33
	v_cndmask_b32_e32 v5, v5, v10, vcc
	v_lshlrev_b32_e32 v6, 4, v5
	v_and_b32_e32 v4, 7, v4
	v_ashrrev_i32_e32 v7, 31, v6
	v_mad_u64_u32 v[4:5], vcc, v4, 24, v[2:3]
	flat_store_dwordx2 v[4:5], v[6:7] offset:8
	s_waitcnt vmcnt(0)
.LBB0_139:                              ;   in Loop: Header=BB0_57 Depth=1
	s_or_b64 exec, exec, s[36:37]
	v_pk_mov_b32 v[4:5], v[0:1], v[0:1] op_sel:[0,1]
.LBB0_140:                              ;   in Loop: Header=BB0_57 Depth=1
	s_or_b64 exec, exec, s[16:17]
	s_and_saveexec_b64 s[16:17], s[10:11]
	s_cbranch_execz .LBB0_159
; %bb.141:                              ;   in Loop: Header=BB0_57 Depth=1
	s_and_saveexec_b64 vcc, s[28:29]
	s_xor_b64 s[36:37], exec, vcc
	s_cbranch_execz .LBB0_156
; %bb.142:                              ;   in Loop: Header=BB0_57 Depth=1
	s_and_saveexec_b64 s[38:39], s[12:13]
	s_cbranch_execz .LBB0_155
; %bb.143:                              ;   in Loop: Header=BB0_57 Depth=1
	s_mov_b64 s[42:43], exec
	v_mbcnt_lo_u32_b32 v0, s42, 0
	v_mbcnt_hi_u32_b32 v0, s43, v0
	v_cmp_eq_u32_e32 vcc, 0, v0
	s_waitcnt vmcnt(0) lgkmcnt(0)
	buffer_wbinvl1_vol
	s_and_saveexec_b64 s[40:41], vcc
	s_cbranch_execz .LBB0_145
; %bb.144:                              ;   in Loop: Header=BB0_57 Depth=1
	s_bcnt1_i32_b64 vcc_lo, s[42:43]
	v_mov_b32_e32 v40, vcc_lo
	ds_add_u64 v0, v[40:41]
	s_trap 2
.LBB0_145:                              ;   in Loop: Header=BB0_57 Depth=1
	s_or_b64 exec, exec, s[40:41]
	s_trap 2
	ds_read_b64 v[0:1], v0
	v_accvgpr_read_b32 v6, a22
	v_add_co_u32_e32 v52, vcc, v52, v6
	v_accvgpr_read_b32 v7, a11
	v_addc_co_u32_e32 v53, vcc, v53, v7, vcc
	s_waitcnt lgkmcnt(0)
	v_cmp_lt_u64_e32 vcc, v[0:1], v[52:53]
	s_and_saveexec_b64 s[40:41], vcc
	s_cbranch_execz .LBB0_154
; %bb.146:                              ;   in Loop: Header=BB0_57 Depth=1
	s_mov_b32 s55, 0
	s_mov_b64 s[42:43], 0
                                        ; implicit-def: $sgpr44_sgpr45
                                        ; implicit-def: $sgpr46_sgpr47
	s_branch .LBB0_148
.LBB0_147:                              ;   in Loop: Header=BB0_148 Depth=2
	s_or_b64 exec, exec, s[50:51]
	s_and_b64 vcc, exec, vcc
	s_or_b64 s[42:43], vcc, s[42:43]
	s_andn2_b64 vcc, s[44:45], exec
	s_and_b64 s[44:45], s[46:47], exec
	s_or_b64 s[44:45], vcc, s[44:45]
	s_andn2_b64 exec, exec, s[42:43]
	s_cbranch_execz .LBB0_152
.LBB0_148:                              ;   Parent Loop BB0_57 Depth=1
                                        ; =>  This Inner Loop Header: Depth=2
	s_add_i32 s55, s55, 1
	s_cmpk_lg_i32 s55, 0x2710
	s_cselect_b64 s[48:49], -1, 0
	s_and_b64 vcc, exec, s[48:49]
                                        ; implicit-def: $sgpr50_sgpr51
	s_cbranch_vccnz .LBB0_150
; %bb.149:                              ;   in Loop: Header=BB0_148 Depth=2
	s_trap 2
	ds_read_b64 v[0:1], v0
	s_andn2_b64 s[48:49], s[48:49], exec
	s_mov_b32 s55, 0
	s_mov_b64 s[50:51], -1
	s_waitcnt lgkmcnt(0)
	flat_load_dword v0, v[0:1] glc
	s_waitcnt vmcnt(0) lgkmcnt(0)
	buffer_invl2
	buffer_wbinvl1_vol
	v_cmp_eq_u32_e32 vcc, 0, v0
	s_and_b64 vcc, vcc, exec
	s_or_b64 s[48:49], s[48:49], vcc
.LBB0_150:                              ;   in Loop: Header=BB0_148 Depth=2
	s_andn2_b64 s[46:47], s[46:47], exec
	s_and_b64 s[50:51], s[50:51], exec
	s_mov_b64 vcc, -1
	s_or_b64 s[46:47], s[46:47], s[50:51]
	s_and_saveexec_b64 s[50:51], s[48:49]
	s_cbranch_execz .LBB0_147
; %bb.151:                              ;   in Loop: Header=BB0_148 Depth=2
	s_sleep 1
	s_trap 2
	ds_read_b64 v[0:1], v0
	s_andn2_b64 s[46:47], s[46:47], exec
	s_waitcnt lgkmcnt(0)
	v_cmp_ge_u64_e32 vcc, v[0:1], v[52:53]
	s_orn2_b64 vcc, vcc, exec
	s_branch .LBB0_147
.LBB0_152:                              ;   in Loop: Header=BB0_57 Depth=1
	s_or_b64 exec, exec, s[42:43]
	s_and_saveexec_b64 vcc, s[44:45]
	s_xor_b64 vcc, exec, vcc
	s_cbranch_execz .LBB0_154
; %bb.153:                              ;   in Loop: Header=BB0_57 Depth=1
	v_mov_b32_e32 v0, 1
	ds_write_b32 v0, v0
	s_trap 2
.LBB0_154:                              ;   in Loop: Header=BB0_57 Depth=1
	s_or_b64 exec, exec, s[40:41]
	;;#ASMSTART
	s_wakeup
	;;#ASMEND
.LBB0_155:                              ;   in Loop: Header=BB0_57 Depth=1
	s_or_b64 exec, exec, s[38:39]
.LBB0_156:                              ;   in Loop: Header=BB0_57 Depth=1
	s_andn2_saveexec_b64 vcc, s[36:37]
	s_cbranch_execz .LBB0_158
; %bb.157:                              ;   in Loop: Header=BB0_57 Depth=1
	s_waitcnt vmcnt(0) lgkmcnt(0)
	buffer_wbinvl1_vol
	s_barrier
.LBB0_158:                              ;   in Loop: Header=BB0_57 Depth=1
	s_or_b64 exec, exec, vcc
.LBB0_159:                              ;   in Loop: Header=BB0_57 Depth=1
	s_or_b64 exec, exec, s[16:17]
	v_sub_u32_e32 v8, v24, v46
	v_cmp_lt_i32_e32 vcc, 0, v8
	v_and_b32_e32 v1, 7, v16
	v_mov_b32_e32 v0, v26
	s_and_saveexec_b64 s[16:17], vcc
	s_cbranch_execz .LBB0_167
; %bb.160:                              ;   in Loop: Header=BB0_57 Depth=1
	v_mul_lo_u32 v6, v1, v10
	v_ashrrev_i32_e32 v7, 31, v6
	v_mov_b32_e32 v11, v16
	v_add_co_u32_e64 v9, vcc, 0, 0
	v_addc_co_u32_e32 v13, vcc, 1, v11, vcc
	v_lshlrev_b64 v[6:7], 4, v[6:7]
	v_accvgpr_read_b32 v0, a31
	v_add_co_u32_e32 v6, vcc, v0, v6
	v_accvgpr_read_b32 v0, a32
	v_mov_b32_e32 v49, v24
	v_addc_co_u32_e32 v7, vcc, v0, v7, vcc
	s_mov_b64 s[36:37], 0
	v_accvgpr_read_b32 v11, a28
	v_pk_mov_b32 v[18:19], v[58:59], v[58:59] op_sel:[0,1]
	v_mov_b32_e32 v0, v26
	s_branch .LBB0_162
.LBB0_161:                              ;   in Loop: Header=BB0_162 Depth=2
	s_or_b64 exec, exec, s[38:39]
	v_add_co_u32_e32 v18, vcc, v18, v56
	s_waitcnt vmcnt(0)
	v_alignbit_b32 v12, v48, v12, v11
	v_alignbit_b32 v14, v21, v48, v11
	v_sub_u32_e32 v8, v8, v56
	v_addc_co_u32_e32 v19, vcc, v19, v57, vcc
	v_or_b32_e32 v12, v9, v12
	v_or_b32_e32 v14, v9, v14
	v_mov_b32_e32 v15, v13
	v_cmp_gt_i32_e32 vcc, 1, v8
	global_store_dwordx4 v[6:7], v[12:15], off
	s_or_b64 s[36:37], vcc, s[36:37]
	v_accvgpr_read_b32 v12, a30
	v_add_co_u32_e32 v6, vcc, v6, v60
	v_add_u32_e32 v0, v0, v20
	v_add_u32_e32 v11, v11, v12
	v_addc_co_u32_e32 v7, vcc, v7, v61, vcc
	s_andn2_b64 exec, exec, s[36:37]
	s_cbranch_execz .LBB0_166
.LBB0_162:                              ;   Parent Loop BB0_57 Depth=1
                                        ; =>  This Inner Loop Header: Depth=2
	v_and_b32_e32 v14, -4, v18
	v_mov_b32_e32 v15, v19
	global_load_dword v12, v[14:15], off glc slc
	v_min_u32_e32 v24, 8, v8
	v_and_b32_e32 v25, 3, v18
	v_add_co_u32_e32 v30, vcc, v25, v24
	v_addc_co_u32_e64 v31, vcc, 0, 0, vcc
	v_mov_b32_e32 v21, 0
	v_cmp_lt_u64_e32 vcc, 4, v[30:31]
	v_mov_b32_e32 v48, 0
	s_and_saveexec_b64 s[38:39], vcc
	s_cbranch_execz .LBB0_164
; %bb.163:                              ;   in Loop: Header=BB0_162 Depth=2
	global_load_dword v48, v[14:15], off offset:4 glc slc
.LBB0_164:                              ;   in Loop: Header=BB0_162 Depth=2
	s_or_b64 exec, exec, s[38:39]
	v_cmp_lt_u64_e32 vcc, 8, v[30:31]
	s_and_saveexec_b64 s[38:39], vcc
	s_cbranch_execz .LBB0_161
; %bb.165:                              ;   in Loop: Header=BB0_162 Depth=2
	global_load_dword v21, v[14:15], off offset:8 glc slc
	s_branch .LBB0_161
.LBB0_166:                              ;   in Loop: Header=BB0_57 Depth=1
	s_or_b64 exec, exec, s[36:37]
	v_mov_b32_e32 v24, v49
.LBB0_167:                              ;   in Loop: Header=BB0_57 Depth=1
	s_or_b64 exec, exec, s[16:17]
	v_and_b32_e32 v40, 0x7ffffff8, v16
	v_cmp_eq_u64_e32 vcc, s[34:35], v[40:41]
	v_cmp_gt_i32_e64 s[16:17], v10, v0
	s_and_b64 s[16:17], vcc, s[16:17]
	s_and_saveexec_b64 s[36:37], s[16:17]
	s_cbranch_execz .LBB0_170
; %bb.168:                              ;   in Loop: Header=BB0_57 Depth=1
	v_mul_lo_u32 v6, v1, v10
	v_mov_b32_e32 v1, v16
	v_add_co_u32_e64 v12, vcc, 0, 0
	v_ashrrev_i32_e32 v7, 31, v6
	v_addc_co_u32_e32 v13, vcc, 1, v1, vcc
	v_ashrrev_i32_e32 v1, 31, v0
	v_lshlrev_b64 v[8:9], 4, v[0:1]
	v_lshlrev_b64 v[6:7], 4, v[6:7]
	v_add_co_u32_e32 v1, vcc, v8, v6
	v_addc_co_u32_e32 v7, vcc, v9, v7, vcc
	v_add_co_u32_e32 v6, vcc, v36, v1
	v_addc_co_u32_e32 v7, vcc, v37, v7, vcc
	s_mov_b64 s[38:39], 0
.LBB0_169:                              ;   Parent Loop BB0_57 Depth=1
                                        ; =>  This Inner Loop Header: Depth=2
	v_mov_b32_e32 v14, v12
	v_mov_b32_e32 v15, v13
	v_add_u32_e32 v0, v0, v20
	global_store_dwordx4 v[6:7], v[12:15], off
	v_cmp_ge_i32_e32 vcc, v0, v10
	v_add_co_u32_e64 v6, s[16:17], v6, v60
	s_or_b64 s[38:39], vcc, s[38:39]
	v_addc_co_u32_e64 v7, vcc, v7, v61, s[16:17]
	s_andn2_b64 exec, exec, s[38:39]
	s_cbranch_execnz .LBB0_169
.LBB0_170:                              ;   in Loop: Header=BB0_57 Depth=1
	s_or_b64 exec, exec, s[36:37]
.LBB0_171:                              ;   in Loop: Header=BB0_57 Depth=1
	s_or_b64 exec, exec, s[18:19]
	v_accvgpr_write_b32 a24, v46
	v_add_co_u32_e32 v46, vcc, 1, v16
	v_accvgpr_write_b32 a26, v47
	v_addc_co_u32_e32 v47, vcc, 0, v17, vcc
	v_accvgpr_read_b32 v0, a24
	s_andn2_b64 vcc, exec, s[30:31]
	v_sub_u32_e32 v21, v24, v0
	s_cbranch_vccnz .LBB0_173
; %bb.172:                              ;   in Loop: Header=BB0_57 Depth=1
	v_sub_u32_e32 v6, v24, v0
	s_cbranch_execz .LBB0_174
	s_branch .LBB0_271
.LBB0_173:                              ;   in Loop: Header=BB0_57 Depth=1
                                        ; implicit-def: $vgpr6
.LBB0_174:                              ;   in Loop: Header=BB0_57 Depth=1
	v_accvgpr_read_b32 v0, a23
	v_accvgpr_read_b32 v6, a36
	;; [unrolled: 1-line block ×3, first 2 shown]
	v_add_co_u32_e32 v44, vcc, v0, v6
	v_accvgpr_read_b32 v0, a25
	v_cmp_lt_i32_e64 s[16:17], 0, v21
	v_addc_co_u32_e32 v45, vcc, v0, v7, vcc
	v_add_u16_e32 v11, 1, v16
	s_mov_b32 s55, 1
.LBB0_175:                              ;   Parent Loop BB0_57 Depth=1
                                        ; =>  This Loop Header: Depth=2
                                        ;       Child Loop BB0_192 Depth 3
                                        ;       Child Loop BB0_208 Depth 3
	;; [unrolled: 1-line block ×3, first 2 shown]
                                        ;         Child Loop BB0_225 Depth 4
                                        ;       Child Loop BB0_259 Depth 3
                                        ;       Child Loop BB0_183 Depth 3
	s_sub_i32 s18, s52, s55
	s_ashr_i32 s19, s18, 31
	s_lshl_b64 s[18:19], s[18:19], 2
	v_mov_b32_e32 v1, s19
	v_add_co_u32_e32 v0, vcc, s18, v22
	v_addc_co_u32_e32 v1, vcc, v23, v1, vcc
	s_waitcnt vmcnt(0) lgkmcnt(0)
	flat_load_dword v6, v[0:1]
	s_and_saveexec_b64 s[18:19], s[6:7]
	s_cbranch_execnz .LBB0_186
; %bb.176:                              ;   in Loop: Header=BB0_175 Depth=2
	s_or_b64 exec, exec, s[18:19]
	s_and_saveexec_b64 s[18:19], s[10:11]
	s_cbranch_execnz .LBB0_201
.LBB0_177:                              ;   in Loop: Header=BB0_175 Depth=2
	s_or_b64 exec, exec, s[18:19]
	v_mov_b32_e32 v0, v26
	s_and_saveexec_b64 s[36:37], s[16:17]
	s_cbranch_execnz .LBB0_219
.LBB0_178:                              ;   in Loop: Header=BB0_175 Depth=2
	s_or_b64 exec, exec, s[36:37]
	s_and_saveexec_b64 s[18:19], s[10:11]
	s_cbranch_execnz .LBB0_252
.LBB0_179:                              ;   in Loop: Header=BB0_175 Depth=2
	s_or_b64 exec, exec, s[18:19]
	s_and_saveexec_b64 s[18:19], s[14:15]
	s_cbranch_execz .LBB0_181
.LBB0_180:                              ;   in Loop: Header=BB0_175 Depth=2
	v_add_co_u32_e32 v38, vcc, 1, v38
	s_waitcnt vmcnt(0) lgkmcnt(0)
	v_accvgpr_read_b32 v6, a16
	v_addc_co_u32_e32 v39, vcc, 0, v39, vcc
	v_accvgpr_read_b32 v7, a17
	flat_store_dwordx2 v[6:7], v[38:39]
.LBB0_181:                              ;   in Loop: Header=BB0_175 Depth=2
	s_or_b64 exec, exec, s[18:19]
	v_and_b32_e32 v40, 0x7ffffff8, v46
	v_cmp_eq_u64_e32 vcc, s[34:35], v[40:41]
	v_cmp_gt_i32_e64 s[18:19], v10, v0
	s_and_b64 s[18:19], vcc, s[18:19]
	s_and_saveexec_b64 s[36:37], s[18:19]
	s_cbranch_execz .LBB0_184
; %bb.182:                              ;   in Loop: Header=BB0_175 Depth=2
	v_and_b32_e32 v1, 7, v11
	s_waitcnt vmcnt(0) lgkmcnt(0)
	v_mul_lo_u32 v6, v10, v1
	v_mov_b32_e32 v1, v46
	v_add_co_u32_e64 v12, vcc, 0, 0
	v_ashrrev_i32_e32 v7, 31, v6
	v_addc_co_u32_e32 v13, vcc, 1, v1, vcc
	v_ashrrev_i32_e32 v1, 31, v0
	v_lshlrev_b64 v[6:7], 4, v[6:7]
	v_lshlrev_b64 v[8:9], 4, v[0:1]
	v_add_co_u32_e32 v1, vcc, v8, v6
	v_addc_co_u32_e32 v7, vcc, v9, v7, vcc
	v_add_co_u32_e32 v6, vcc, v36, v1
	v_addc_co_u32_e32 v7, vcc, v37, v7, vcc
	s_mov_b64 s[38:39], 0
.LBB0_183:                              ;   Parent Loop BB0_57 Depth=1
                                        ;     Parent Loop BB0_175 Depth=2
                                        ; =>    This Inner Loop Header: Depth=3
	v_mov_b32_e32 v14, v12
	v_mov_b32_e32 v15, v13
	v_add_u32_e32 v0, v0, v20
	global_store_dwordx4 v[6:7], v[12:15], off
	v_cmp_ge_i32_e32 vcc, v0, v10
	v_add_co_u32_e64 v6, s[18:19], v6, v60
	s_or_b64 s[38:39], vcc, s[38:39]
	v_addc_co_u32_e64 v7, vcc, v7, v61, s[18:19]
	s_andn2_b64 exec, exec, s[38:39]
	s_cbranch_execnz .LBB0_183
.LBB0_184:                              ;   in Loop: Header=BB0_175 Depth=2
	s_or_b64 exec, exec, s[36:37]
	v_add_co_u32_e32 v34, vcc, 1, v34
	v_addc_co_u32_e32 v35, vcc, 0, v35, vcc
	s_add_i32 s18, s55, 1
	v_add_co_u32_e32 v46, vcc, 1, v46
	v_addc_co_u32_e32 v47, vcc, 0, v47, vcc
	s_cmp_eq_u32 s55, s53
	v_add_u16_e32 v11, 1, v11
	s_cbranch_scc1 .LBB0_270
; %bb.185:                              ;   in Loop: Header=BB0_175 Depth=2
	s_mov_b32 s55, s18
	s_branch .LBB0_175
.LBB0_186:                              ;   in Loop: Header=BB0_175 Depth=2
	v_add_co_u32_e32 v0, vcc, 1, v4
	v_addc_co_u32_e32 v1, vcc, 0, v5, vcc
	s_waitcnt vmcnt(0) lgkmcnt(0)
	v_add_co_u32_e32 v8, vcc, 8, v54
	v_addc_co_u32_e32 v9, vcc, 0, v55, vcc
	v_cmp_lt_u64_e32 vcc, v[8:9], v[0:1]
	s_and_saveexec_b64 s[36:37], vcc
	s_cbranch_execz .LBB0_198
; %bb.187:                              ;   in Loop: Header=BB0_175 Depth=2
	s_sleep 1
	flat_load_dwordx2 v[54:55], v[50:51] glc
	v_cmp_eq_u32_e32 vcc, 0, v27
	s_and_saveexec_b64 s[38:39], vcc
	s_cbranch_execz .LBB0_197
; %bb.188:                              ;   in Loop: Header=BB0_175 Depth=2
	v_cndmask_b32_e64 v5, 0, 1, vcc
	s_mov_b64 s[40:41], 0
                                        ; implicit-def: $sgpr42_sgpr43
	s_branch .LBB0_192
.LBB0_189:                              ;   in Loop: Header=BB0_192 Depth=3
	s_or_b64 exec, exec, s[50:51]
	s_orn2_b64 s[48:49], s[48:49], exec
.LBB0_190:                              ;   in Loop: Header=BB0_192 Depth=3
	s_or_b64 exec, exec, s[46:47]
	s_xor_b64 vcc, s[48:49], -1
	s_andn2_b64 s[42:43], s[42:43], exec
	s_and_b64 vcc, vcc, exec
	s_or_b64 s[42:43], s[42:43], vcc
.LBB0_191:                              ;   in Loop: Header=BB0_192 Depth=3
	s_or_b64 exec, exec, s[44:45]
	s_and_b64 vcc, exec, s[42:43]
	s_or_b64 s[40:41], vcc, s[40:41]
	s_andn2_b64 exec, exec, s[40:41]
	s_cbranch_execz .LBB0_196
.LBB0_192:                              ;   Parent Loop BB0_57 Depth=1
                                        ;     Parent Loop BB0_175 Depth=2
                                        ; =>    This Inner Loop Header: Depth=3
	s_waitcnt vmcnt(0) lgkmcnt(0)
	v_add_co_u32_e32 v8, vcc, 8, v54
	v_addc_co_u32_e32 v9, vcc, 0, v55, vcc
	v_cmp_lt_u64_e32 vcc, v[8:9], v[0:1]
	v_mov_b32_e32 v27, 0
	s_or_b64 s[42:43], s[42:43], exec
	s_and_saveexec_b64 s[44:45], vcc
	s_cbranch_execz .LBB0_191
; %bb.193:                              ;   in Loop: Header=BB0_192 Depth=3
	s_sleep 1
	flat_load_dwordx2 v[54:55], v[50:51] glc
	v_add_u32_e32 v5, 1, v5
	v_cmp_eq_u32_e32 vcc, s54, v5
	s_mov_b64 s[48:49], -1
	v_mov_b32_e32 v27, 0
	s_and_saveexec_b64 s[46:47], vcc
	s_cbranch_execz .LBB0_190
; %bb.194:                              ;   in Loop: Header=BB0_192 Depth=3
	s_trap 2
	ds_read_b64 v[8:9], v0
	v_mov_b32_e32 v5, 0
	v_mov_b32_e32 v27, 0
	s_waitcnt vmcnt(0) lgkmcnt(0)
	flat_load_dword v7, v[8:9] glc
	s_waitcnt vmcnt(0) lgkmcnt(0)
	buffer_invl2
	buffer_wbinvl1_vol
	v_cmp_ne_u32_e32 vcc, 0, v7
	s_and_saveexec_b64 s[50:51], vcc
	s_cbranch_execz .LBB0_189
; %bb.195:                              ;   in Loop: Header=BB0_192 Depth=3
	v_mov_b32_e32 v27, 1
	s_xor_b64 s[48:49], exec, -1
	ds_write_b32 v0, v7
	s_trap 2
	s_branch .LBB0_189
.LBB0_196:                              ;   in Loop: Header=BB0_175 Depth=2
	s_or_b64 exec, exec, s[40:41]
.LBB0_197:                              ;   in Loop: Header=BB0_175 Depth=2
	s_or_b64 exec, exec, s[38:39]
.LBB0_198:                              ;   in Loop: Header=BB0_175 Depth=2
	s_or_b64 exec, exec, s[36:37]
	s_and_saveexec_b64 s[36:37], s[8:9]
	s_cbranch_execz .LBB0_200
; %bb.199:                              ;   in Loop: Header=BB0_175 Depth=2
	v_and_b32_e32 v40, 0x7ffffff8, v4
	v_cmp_eq_u64_e32 vcc, s[34:35], v[40:41]
	v_accvgpr_read_b32 v5, a33
	v_cndmask_b32_e32 v5, v5, v10, vcc
	v_lshlrev_b32_e32 v8, 4, v5
	v_and_b32_e32 v4, 7, v4
	v_ashrrev_i32_e32 v9, 31, v8
	v_mad_u64_u32 v[4:5], vcc, v4, 24, v[2:3]
	flat_store_dwordx2 v[4:5], v[8:9] offset:8
	s_waitcnt vmcnt(0)
.LBB0_200:                              ;   in Loop: Header=BB0_175 Depth=2
	s_or_b64 exec, exec, s[36:37]
	v_pk_mov_b32 v[4:5], v[0:1], v[0:1] op_sel:[0,1]
	s_or_b64 exec, exec, s[18:19]
	s_and_saveexec_b64 s[18:19], s[10:11]
	s_cbranch_execz .LBB0_177
.LBB0_201:                              ;   in Loop: Header=BB0_175 Depth=2
	s_and_saveexec_b64 vcc, s[28:29]
	s_xor_b64 s[36:37], exec, vcc
	s_cbranch_execz .LBB0_216
; %bb.202:                              ;   in Loop: Header=BB0_175 Depth=2
	s_and_saveexec_b64 s[38:39], s[12:13]
	s_cbranch_execz .LBB0_215
; %bb.203:                              ;   in Loop: Header=BB0_175 Depth=2
	s_mov_b64 s[42:43], exec
	v_mbcnt_lo_u32_b32 v0, s42, 0
	v_mbcnt_hi_u32_b32 v0, s43, v0
	v_cmp_eq_u32_e32 vcc, 0, v0
	s_waitcnt vmcnt(0) lgkmcnt(0)
	buffer_wbinvl1_vol
	s_and_saveexec_b64 s[40:41], vcc
	s_cbranch_execz .LBB0_205
; %bb.204:                              ;   in Loop: Header=BB0_175 Depth=2
	s_bcnt1_i32_b64 vcc_lo, s[42:43]
	v_mov_b32_e32 v40, vcc_lo
	ds_add_u64 v0, v[40:41]
	s_trap 2
.LBB0_205:                              ;   in Loop: Header=BB0_175 Depth=2
	s_or_b64 exec, exec, s[40:41]
	s_trap 2
	ds_read_b64 v[0:1], v0
	v_accvgpr_read_b32 v8, a22
	v_add_co_u32_e32 v52, vcc, v52, v8
	v_accvgpr_read_b32 v7, a11
	v_addc_co_u32_e32 v53, vcc, v53, v7, vcc
	s_waitcnt lgkmcnt(0)
	v_cmp_lt_u64_e32 vcc, v[0:1], v[52:53]
	s_and_saveexec_b64 s[40:41], vcc
	s_cbranch_execz .LBB0_214
; %bb.206:                              ;   in Loop: Header=BB0_175 Depth=2
	s_mov_b32 s56, 0
	s_mov_b64 s[42:43], 0
                                        ; implicit-def: $sgpr44_sgpr45
                                        ; implicit-def: $sgpr46_sgpr47
	s_branch .LBB0_208
.LBB0_207:                              ;   in Loop: Header=BB0_208 Depth=3
	s_or_b64 exec, exec, s[50:51]
	s_and_b64 vcc, exec, vcc
	s_or_b64 s[42:43], vcc, s[42:43]
	s_andn2_b64 vcc, s[44:45], exec
	s_and_b64 s[44:45], s[46:47], exec
	s_or_b64 s[44:45], vcc, s[44:45]
	s_andn2_b64 exec, exec, s[42:43]
	s_cbranch_execz .LBB0_212
.LBB0_208:                              ;   Parent Loop BB0_57 Depth=1
                                        ;     Parent Loop BB0_175 Depth=2
                                        ; =>    This Inner Loop Header: Depth=3
	s_add_i32 s56, s56, 1
	s_cmpk_lg_i32 s56, 0x2710
	s_cselect_b64 s[48:49], -1, 0
	s_and_b64 vcc, exec, s[48:49]
                                        ; implicit-def: $sgpr50_sgpr51
	s_cbranch_vccnz .LBB0_210
; %bb.209:                              ;   in Loop: Header=BB0_208 Depth=3
	s_trap 2
	ds_read_b64 v[0:1], v0
	s_andn2_b64 s[48:49], s[48:49], exec
	s_mov_b32 s56, 0
	s_mov_b64 s[50:51], -1
	s_waitcnt lgkmcnt(0)
	flat_load_dword v0, v[0:1] glc
	s_waitcnt vmcnt(0) lgkmcnt(0)
	buffer_invl2
	buffer_wbinvl1_vol
	v_cmp_eq_u32_e32 vcc, 0, v0
	s_and_b64 vcc, vcc, exec
	s_or_b64 s[48:49], s[48:49], vcc
.LBB0_210:                              ;   in Loop: Header=BB0_208 Depth=3
	s_andn2_b64 s[46:47], s[46:47], exec
	s_and_b64 s[50:51], s[50:51], exec
	s_mov_b64 vcc, -1
	s_or_b64 s[46:47], s[46:47], s[50:51]
	s_and_saveexec_b64 s[50:51], s[48:49]
	s_cbranch_execz .LBB0_207
; %bb.211:                              ;   in Loop: Header=BB0_208 Depth=3
	s_sleep 1
	s_trap 2
	ds_read_b64 v[0:1], v0
	s_andn2_b64 s[46:47], s[46:47], exec
	s_waitcnt lgkmcnt(0)
	v_cmp_ge_u64_e32 vcc, v[0:1], v[52:53]
	s_orn2_b64 vcc, vcc, exec
	s_branch .LBB0_207
.LBB0_212:                              ;   in Loop: Header=BB0_175 Depth=2
	s_or_b64 exec, exec, s[42:43]
	s_and_saveexec_b64 vcc, s[44:45]
	s_xor_b64 vcc, exec, vcc
	s_cbranch_execz .LBB0_214
; %bb.213:                              ;   in Loop: Header=BB0_175 Depth=2
	v_mov_b32_e32 v0, 1
	ds_write_b32 v0, v0
	s_trap 2
.LBB0_214:                              ;   in Loop: Header=BB0_175 Depth=2
	s_or_b64 exec, exec, s[40:41]
	;;#ASMSTART
	s_wakeup
	;;#ASMEND
.LBB0_215:                              ;   in Loop: Header=BB0_175 Depth=2
	s_or_b64 exec, exec, s[38:39]
.LBB0_216:                              ;   in Loop: Header=BB0_175 Depth=2
	s_andn2_saveexec_b64 vcc, s[36:37]
	s_cbranch_execz .LBB0_218
; %bb.217:                              ;   in Loop: Header=BB0_175 Depth=2
	s_waitcnt vmcnt(0) lgkmcnt(0)
	buffer_wbinvl1_vol
	s_barrier
.LBB0_218:                              ;   in Loop: Header=BB0_175 Depth=2
	s_or_b64 exec, exec, vcc
	s_or_b64 exec, exec, s[18:19]
	v_mov_b32_e32 v0, v26
	s_and_saveexec_b64 s[36:37], s[16:17]
	s_cbranch_execz .LBB0_178
.LBB0_219:                              ;   in Loop: Header=BB0_175 Depth=2
	s_waitcnt vmcnt(0) lgkmcnt(0)
	v_ashrrev_i32_e32 v0, 31, v6
	v_accvgpr_read_b32 v1, a1
	v_mad_u64_u32 v[30:31], s[18:19], v62, v6, v[44:45]
	v_mul_lo_u32 v1, v1, v6
	v_mul_lo_u32 v0, v62, v0
	v_add3_u32 v31, v1, v31, v0
	v_and_b32_e32 v0, 7, v34
	v_mul_lo_u32 v0, v0, v10
	v_ashrrev_i32_e32 v1, 31, v0
	v_lshlrev_b64 v[0:1], 4, v[0:1]
	v_add_co_u32_e32 v40, vcc, v32, v0
	v_and_b32_e32 v0, 7, v46
	v_mul_lo_u32 v0, v0, v10
	v_addc_co_u32_e32 v9, vcc, v33, v1, vcc
	v_ashrrev_i32_e32 v1, 31, v0
	v_lshlrev_b64 v[0:1], 4, v[0:1]
	v_add_co_u32_e32 v49, vcc, v36, v0
	v_addc_co_u32_e32 v8, vcc, v37, v1, vcc
	v_mov_b32_e32 v1, v46
	v_add_co_u32_e64 v42, vcc, 0, 0
	v_add_u32_e32 v48, 1, v34
	v_addc_co_u32_e32 v13, vcc, 1, v1, vcc
	s_mov_b64 s[38:39], 0
	v_mov_b32_e32 v43, v21
	v_mov_b32_e32 v0, v26
	s_branch .LBB0_221
.LBB0_220:                              ;   in Loop: Header=BB0_221 Depth=3
	v_add_co_u32_e32 v30, vcc, v30, v56
	v_addc_co_u32_e32 v31, vcc, v31, v57, vcc
	v_sub_u32_e32 v43, v43, v56
	v_cmp_gt_i32_e32 vcc, 1, v43
	s_or_b64 s[38:39], vcc, s[38:39]
	v_add_u32_e32 v0, v0, v20
	s_andn2_b64 exec, exec, s[38:39]
	s_cbranch_execz .LBB0_251
.LBB0_221:                              ;   Parent Loop BB0_57 Depth=1
                                        ;     Parent Loop BB0_175 Depth=2
                                        ; =>    This Loop Header: Depth=3
                                        ;         Child Loop BB0_225 Depth 4
	v_ashrrev_i32_e32 v1, 31, v0
	v_lshlrev_b64 v[14:15], 4, v[0:1]
	v_add_co_u32_e32 v6, vcc, v40, v14
	v_addc_co_u32_e32 v7, vcc, v9, v15, vcc
	global_load_dwordx4 v[16:19], v[6:7], off glc slc
	v_cmp_eq_u32_e32 vcc, 0, v27
	s_and_saveexec_b64 s[40:41], vcc
	s_cbranch_execz .LBB0_233
; %bb.222:                              ;   in Loop: Header=BB0_221 Depth=3
	s_waitcnt vmcnt(0)
	v_cmp_ne_u32_e32 vcc, v48, v17
	v_cmp_ne_u32_e64 s[18:19], v48, v19
	s_or_b64 s[18:19], vcc, s[18:19]
	v_mov_b32_e32 v27, 0
	s_and_saveexec_b64 s[42:43], s[18:19]
	s_cbranch_execz .LBB0_232
; %bb.223:                              ;   in Loop: Header=BB0_221 Depth=3
	s_mov_b32 s48, 1
	s_mov_b64 s[44:45], 0
	v_mov_b32_e32 v27, 0
	s_branch .LBB0_225
.LBB0_224:                              ;   in Loop: Header=BB0_225 Depth=4
	s_or_b64 exec, exec, s[46:47]
	s_and_b64 s[18:19], exec, s[18:19]
	s_or_b64 s[44:45], s[18:19], s[44:45]
	s_andn2_b64 exec, exec, s[44:45]
	s_cbranch_execz .LBB0_231
.LBB0_225:                              ;   Parent Loop BB0_57 Depth=1
                                        ;     Parent Loop BB0_175 Depth=2
                                        ;       Parent Loop BB0_221 Depth=3
                                        ; =>      This Inner Loop Header: Depth=4
	global_load_dwordx4 v[16:19], v[6:7], off glc slc
	s_add_i32 s48, s48, 1
	s_cmpk_lg_i32 s48, 0x2710
	s_cbranch_scc1 .LBB0_229
; %bb.226:                              ;   in Loop: Header=BB0_225 Depth=4
	s_trap 2
	ds_read_b64 v[24:25], v0
	s_waitcnt vmcnt(0) lgkmcnt(0)
	flat_load_dword v1, v[24:25] glc
	s_waitcnt vmcnt(0) lgkmcnt(0)
	buffer_invl2
	buffer_wbinvl1_vol
	v_cmp_ne_u32_e32 vcc, 0, v1
	s_and_saveexec_b64 s[18:19], vcc
	s_cbranch_execz .LBB0_228
; %bb.227:                              ;   in Loop: Header=BB0_225 Depth=4
	v_mov_b32_e32 v27, 1
	ds_write_b32 v0, v1
	s_trap 2
.LBB0_228:                              ;   in Loop: Header=BB0_225 Depth=4
	s_or_b64 exec, exec, s[18:19]
	s_mov_b32 s48, 0
	v_mov_b32_e32 v1, v27
	v_cmp_eq_u32_e32 vcc, 0, v1
	s_mov_b64 s[18:19], -1
	s_and_saveexec_b64 s[46:47], vcc
	s_cbranch_execz .LBB0_224
	s_branch .LBB0_230
.LBB0_229:                              ;   in Loop: Header=BB0_225 Depth=4
	v_mov_b32_e32 v1, 0
	v_cmp_eq_u32_e32 vcc, 0, v1
	s_mov_b64 s[18:19], -1
	s_and_saveexec_b64 s[46:47], vcc
	s_cbranch_execz .LBB0_224
.LBB0_230:                              ;   in Loop: Header=BB0_225 Depth=4
	s_waitcnt vmcnt(0)
	v_cmp_eq_u32_e32 vcc, v48, v17
	v_cmp_eq_u32_e64 s[18:19], v48, v19
	s_and_b64 s[18:19], vcc, s[18:19]
	s_orn2_b64 s[18:19], s[18:19], exec
	s_branch .LBB0_224
.LBB0_231:                              ;   in Loop: Header=BB0_221 Depth=3
	s_or_b64 exec, exec, s[44:45]
.LBB0_232:                              ;   in Loop: Header=BB0_221 Depth=3
	s_or_b64 exec, exec, s[42:43]
.LBB0_233:                              ;   in Loop: Header=BB0_221 Depth=3
	s_or_b64 exec, exec, s[40:41]
	v_add_co_u32_e32 v6, vcc, v49, v14
	v_addc_co_u32_e32 v7, vcc, v8, v15, vcc
	s_waitcnt vmcnt(0)
	v_or_b32_e32 v12, v16, v42
	v_or_b32_e32 v14, v18, v42
	v_mov_b32_e32 v15, v13
	v_cmp_lt_u32_e32 vcc, 7, v43
	global_store_dwordx4 v[6:7], v[12:15], off
	v_cndmask_b32_e64 v6, 0, 1, vcc
	;;#ASMSTART
	;;#ASMEND
	v_cmp_ne_u32_e64 s[18:19], 0, v6
	v_mov_b32_e32 v1, v18
	s_cmp_lg_u64 s[18:19], exec
	s_mov_b64 s[18:19], -1
	s_cbranch_scc0 .LBB0_243
; %bb.234:                              ;   in Loop: Header=BB0_221 Depth=3
	v_cmp_ne_u32_e64 s[18:19], 1, v43
	flat_store_byte v[30:31], v16
	s_and_saveexec_b64 s[40:41], s[18:19]
	s_cbranch_execnz .LBB0_245
; %bb.235:                              ;   in Loop: Header=BB0_221 Depth=3
	s_or_b64 exec, exec, s[40:41]
	v_cmp_lt_u32_e64 s[18:19], 2, v43
	s_and_saveexec_b64 s[40:41], s[18:19]
	s_cbranch_execnz .LBB0_246
.LBB0_236:                              ;   in Loop: Header=BB0_221 Depth=3
	s_or_b64 exec, exec, s[40:41]
	v_cmp_lt_u32_e64 s[18:19], 3, v43
	s_and_saveexec_b64 s[40:41], s[18:19]
	s_cbranch_execnz .LBB0_247
.LBB0_237:                              ;   in Loop: Header=BB0_221 Depth=3
	s_or_b64 exec, exec, s[40:41]
	v_cmp_lt_u32_e64 s[18:19], 4, v43
	s_and_saveexec_b64 s[40:41], s[18:19]
	s_cbranch_execnz .LBB0_248
.LBB0_238:                              ;   in Loop: Header=BB0_221 Depth=3
	s_or_b64 exec, exec, s[40:41]
	v_cmp_lt_u32_e64 s[18:19], 5, v43
	s_and_saveexec_b64 s[40:41], s[18:19]
	s_cbranch_execnz .LBB0_249
.LBB0_239:                              ;   in Loop: Header=BB0_221 Depth=3
	s_or_b64 exec, exec, s[40:41]
	v_cmp_lt_u32_e64 s[18:19], 6, v43
	s_and_saveexec_b64 s[40:41], s[18:19]
	s_cbranch_execnz .LBB0_250
.LBB0_240:                              ;   in Loop: Header=BB0_221 Depth=3
	s_or_b64 exec, exec, s[40:41]
	s_and_saveexec_b64 s[18:19], vcc
	s_cbranch_execz .LBB0_242
.LBB0_241:                              ;   in Loop: Header=BB0_221 Depth=3
	v_lshrrev_b32_e32 v6, 24, v1
	flat_store_byte v[30:31], v6 offset:7
.LBB0_242:                              ;   in Loop: Header=BB0_221 Depth=3
	s_or_b64 exec, exec, s[18:19]
	s_mov_b64 s[18:19], 0
.LBB0_243:                              ;   in Loop: Header=BB0_221 Depth=3
	s_and_b64 vcc, exec, s[18:19]
	s_cbranch_vccz .LBB0_220
; %bb.244:                              ;   in Loop: Header=BB0_221 Depth=3
	v_or_b32_e32 v17, 0, v1
	global_store_dwordx2 v[30:31], v[16:17], off
	s_branch .LBB0_220
.LBB0_245:                              ;   in Loop: Header=BB0_221 Depth=3
	v_lshrrev_b32_e32 v6, 8, v16
	flat_store_byte v[30:31], v6 offset:1
	s_or_b64 exec, exec, s[40:41]
	v_cmp_lt_u32_e64 s[18:19], 2, v43
	s_and_saveexec_b64 s[40:41], s[18:19]
	s_cbranch_execz .LBB0_236
.LBB0_246:                              ;   in Loop: Header=BB0_221 Depth=3
	flat_store_byte_d16_hi v[30:31], v16 offset:2
	s_or_b64 exec, exec, s[40:41]
	v_cmp_lt_u32_e64 s[18:19], 3, v43
	s_and_saveexec_b64 s[40:41], s[18:19]
	s_cbranch_execz .LBB0_237
.LBB0_247:                              ;   in Loop: Header=BB0_221 Depth=3
	v_lshrrev_b32_e32 v6, 24, v16
	flat_store_byte v[30:31], v6 offset:3
	s_or_b64 exec, exec, s[40:41]
	v_cmp_lt_u32_e64 s[18:19], 4, v43
	s_and_saveexec_b64 s[40:41], s[18:19]
	s_cbranch_execz .LBB0_238
.LBB0_248:                              ;   in Loop: Header=BB0_221 Depth=3
	flat_store_byte v[30:31], v18 offset:4
	s_or_b64 exec, exec, s[40:41]
	v_cmp_lt_u32_e64 s[18:19], 5, v43
	s_and_saveexec_b64 s[40:41], s[18:19]
	s_cbranch_execz .LBB0_239
.LBB0_249:                              ;   in Loop: Header=BB0_221 Depth=3
	v_lshrrev_b32_e32 v6, 8, v1
	flat_store_byte v[30:31], v6 offset:5
	s_or_b64 exec, exec, s[40:41]
	v_cmp_lt_u32_e64 s[18:19], 6, v43
	s_and_saveexec_b64 s[40:41], s[18:19]
	s_cbranch_execz .LBB0_240
.LBB0_250:                              ;   in Loop: Header=BB0_221 Depth=3
	flat_store_byte_d16_hi v[30:31], v1 offset:6
	s_or_b64 exec, exec, s[40:41]
	s_and_saveexec_b64 s[18:19], vcc
	s_cbranch_execnz .LBB0_241
	s_branch .LBB0_242
.LBB0_251:                              ;   in Loop: Header=BB0_175 Depth=2
	s_or_b64 exec, exec, s[38:39]
	s_or_b64 exec, exec, s[36:37]
	s_and_saveexec_b64 s[18:19], s[10:11]
	s_cbranch_execz .LBB0_179
.LBB0_252:                              ;   in Loop: Header=BB0_175 Depth=2
	s_and_saveexec_b64 vcc, s[28:29]
	s_xor_b64 s[36:37], exec, vcc
	s_cbranch_execz .LBB0_267
; %bb.253:                              ;   in Loop: Header=BB0_175 Depth=2
	s_and_saveexec_b64 s[38:39], s[12:13]
	s_cbranch_execz .LBB0_266
; %bb.254:                              ;   in Loop: Header=BB0_175 Depth=2
	s_mov_b64 s[42:43], exec
	v_mbcnt_lo_u32_b32 v1, s42, 0
	v_mbcnt_hi_u32_b32 v1, s43, v1
	v_cmp_eq_u32_e32 vcc, 0, v1
	s_waitcnt vmcnt(0) lgkmcnt(0)
	buffer_wbinvl1_vol
	s_and_saveexec_b64 s[40:41], vcc
	s_cbranch_execz .LBB0_256
; %bb.255:                              ;   in Loop: Header=BB0_175 Depth=2
	s_bcnt1_i32_b64 vcc_lo, s[42:43]
	v_mov_b32_e32 v40, vcc_lo
	ds_add_u64 v0, v[40:41]
	s_trap 2
.LBB0_256:                              ;   in Loop: Header=BB0_175 Depth=2
	s_or_b64 exec, exec, s[40:41]
	s_trap 2
	ds_read_b64 v[6:7], v0
	v_accvgpr_read_b32 v8, a22
	v_add_co_u32_e32 v52, vcc, v52, v8
	v_accvgpr_read_b32 v1, a11
	v_addc_co_u32_e32 v53, vcc, v53, v1, vcc
	s_waitcnt lgkmcnt(0)
	v_cmp_lt_u64_e32 vcc, v[6:7], v[52:53]
	s_and_saveexec_b64 s[40:41], vcc
	s_cbranch_execz .LBB0_265
; %bb.257:                              ;   in Loop: Header=BB0_175 Depth=2
	s_mov_b32 s56, 0
	s_mov_b64 s[42:43], 0
                                        ; implicit-def: $sgpr44_sgpr45
                                        ; implicit-def: $sgpr46_sgpr47
	s_branch .LBB0_259
.LBB0_258:                              ;   in Loop: Header=BB0_259 Depth=3
	s_or_b64 exec, exec, s[50:51]
	s_and_b64 vcc, exec, vcc
	s_or_b64 s[42:43], vcc, s[42:43]
	s_andn2_b64 vcc, s[44:45], exec
	s_and_b64 s[44:45], s[46:47], exec
	s_or_b64 s[44:45], vcc, s[44:45]
	s_andn2_b64 exec, exec, s[42:43]
	s_cbranch_execz .LBB0_263
.LBB0_259:                              ;   Parent Loop BB0_57 Depth=1
                                        ;     Parent Loop BB0_175 Depth=2
                                        ; =>    This Inner Loop Header: Depth=3
	s_add_i32 s56, s56, 1
	s_cmpk_lg_i32 s56, 0x2710
	s_cselect_b64 s[48:49], -1, 0
	s_and_b64 vcc, exec, s[48:49]
                                        ; implicit-def: $sgpr50_sgpr51
	s_cbranch_vccnz .LBB0_261
; %bb.260:                              ;   in Loop: Header=BB0_259 Depth=3
	s_trap 2
	ds_read_b64 v[6:7], v0
	s_andn2_b64 s[48:49], s[48:49], exec
	s_mov_b32 s56, 0
	s_mov_b64 s[50:51], -1
	s_waitcnt lgkmcnt(0)
	flat_load_dword v1, v[6:7] glc
	s_waitcnt vmcnt(0) lgkmcnt(0)
	buffer_invl2
	buffer_wbinvl1_vol
	v_cmp_eq_u32_e32 vcc, 0, v1
	s_and_b64 vcc, vcc, exec
	s_or_b64 s[48:49], s[48:49], vcc
.LBB0_261:                              ;   in Loop: Header=BB0_259 Depth=3
	s_andn2_b64 s[46:47], s[46:47], exec
	s_and_b64 s[50:51], s[50:51], exec
	s_mov_b64 vcc, -1
	s_or_b64 s[46:47], s[46:47], s[50:51]
	s_and_saveexec_b64 s[50:51], s[48:49]
	s_cbranch_execz .LBB0_258
; %bb.262:                              ;   in Loop: Header=BB0_259 Depth=3
	s_sleep 1
	s_trap 2
	ds_read_b64 v[6:7], v0
	s_andn2_b64 s[46:47], s[46:47], exec
	s_waitcnt lgkmcnt(0)
	v_cmp_ge_u64_e32 vcc, v[6:7], v[52:53]
	s_orn2_b64 vcc, vcc, exec
	s_branch .LBB0_258
.LBB0_263:                              ;   in Loop: Header=BB0_175 Depth=2
	s_or_b64 exec, exec, s[42:43]
	s_and_saveexec_b64 vcc, s[44:45]
	s_xor_b64 vcc, exec, vcc
	s_cbranch_execz .LBB0_265
; %bb.264:                              ;   in Loop: Header=BB0_175 Depth=2
	v_mov_b32_e32 v1, 1
	ds_write_b32 v0, v1
	s_trap 2
.LBB0_265:                              ;   in Loop: Header=BB0_175 Depth=2
	s_or_b64 exec, exec, s[40:41]
	;;#ASMSTART
	s_wakeup
	;;#ASMEND
.LBB0_266:                              ;   in Loop: Header=BB0_175 Depth=2
	s_or_b64 exec, exec, s[38:39]
.LBB0_267:                              ;   in Loop: Header=BB0_175 Depth=2
	s_andn2_saveexec_b64 vcc, s[36:37]
	s_cbranch_execz .LBB0_269
; %bb.268:                              ;   in Loop: Header=BB0_175 Depth=2
	s_waitcnt vmcnt(0) lgkmcnt(0)
	buffer_wbinvl1_vol
	s_barrier
.LBB0_269:                              ;   in Loop: Header=BB0_175 Depth=2
	s_or_b64 exec, exec, vcc
	s_or_b64 exec, exec, s[18:19]
	s_and_saveexec_b64 s[18:19], s[14:15]
	s_cbranch_execnz .LBB0_180
	s_branch .LBB0_181
.LBB0_270:                              ;   in Loop: Header=BB0_57 Depth=1
	s_waitcnt vmcnt(0) lgkmcnt(0)
	v_mov_b32_e32 v6, v21
.LBB0_271:                              ;   in Loop: Header=BB0_57 Depth=1
	v_pk_mov_b32 v[16:17], v[46:47], v[46:47] op_sel:[0,1]
	v_cmp_lt_i32_e32 vcc, 0, v6
	s_mov_b64 s[18:19], exec
	s_and_b64 s[16:17], s[18:19], vcc
	v_accvgpr_read_b32 v46, a24
	v_accvgpr_read_b32 v47, a26
	s_mov_b64 exec, s[16:17]
	s_cbranch_execnz .LBB0_274
; %bb.272:                              ;   in Loop: Header=BB0_57 Depth=1
	s_or_b64 exec, exec, s[18:19]
	s_and_saveexec_b64 s[16:17], s[10:11]
	s_cbranch_execnz .LBB0_307
.LBB0_273:                              ;   in Loop: Header=BB0_57 Depth=1
	s_or_b64 exec, exec, s[16:17]
	s_and_saveexec_b64 s[16:17], s[14:15]
	s_cbranch_execz .LBB0_56
	s_branch .LBB0_325
.LBB0_274:                              ;   in Loop: Header=BB0_57 Depth=1
	flat_load_dword v11, v[22:23] offset:4
	v_accvgpr_read_b32 v15, a9
	v_and_b32_e32 v8, 7, v34
	v_accvgpr_read_b32 v12, a6
	v_accvgpr_read_b32 v0, a36
	v_mul_lo_u32 v8, v8, v10
	v_accvgpr_read_b32 v13, a7
	v_accvgpr_read_b32 v1, a37
	v_add_co_u32_e32 v0, vcc, v12, v0
	v_ashrrev_i32_e32 v9, 31, v8
	v_addc_co_u32_e32 v1, vcc, v13, v1, vcc
	v_lshlrev_b64 v[8:9], 4, v[8:9]
	v_add_co_u32_e32 v8, vcc, v32, v8
	v_accvgpr_read_b32 v13, a1
	v_addc_co_u32_e32 v9, vcc, v33, v9, vcc
	v_add_u32_e32 v7, 1, v34
	s_mov_b64 s[36:37], 0
	v_mov_b32_e32 v18, v26
	v_accvgpr_read_b32 v14, a8
	s_waitcnt vmcnt(0) lgkmcnt(0)
	v_ashrrev_i32_e32 v12, 31, v11
	v_mul_lo_u32 v13, v13, v11
	v_mad_u64_u32 v[0:1], s[16:17], v62, v11, v[0:1]
	v_mul_lo_u32 v11, v62, v12
	v_add3_u32 v1, v13, v1, v11
	v_add_co_u32_e32 v0, vcc, v0, v46
	v_accvgpr_read_b32 v11, a19
	v_addc_co_u32_e32 v1, vcc, v1, v11, vcc
	s_branch .LBB0_276
.LBB0_275:                              ;   in Loop: Header=BB0_276 Depth=2
	v_add_co_u32_e32 v0, vcc, v0, v56
	v_addc_co_u32_e32 v1, vcc, v1, v57, vcc
	v_sub_u32_e32 v6, v6, v56
	v_cmp_gt_i32_e32 vcc, 1, v6
	s_or_b64 s[36:37], vcc, s[36:37]
	v_add_u32_e32 v18, v18, v20
	s_andn2_b64 exec, exec, s[36:37]
	s_cbranch_execz .LBB0_306
.LBB0_276:                              ;   Parent Loop BB0_57 Depth=1
                                        ; =>  This Loop Header: Depth=2
                                        ;       Child Loop BB0_280 Depth 3
	v_ashrrev_i32_e32 v19, 31, v18
	v_lshlrev_b64 v[12:13], 4, v[18:19]
	v_add_co_u32_e32 v30, vcc, v8, v12
	v_addc_co_u32_e32 v31, vcc, v9, v13, vcc
	global_load_dwordx4 v[12:15], v[30:31], off glc slc
	v_cmp_eq_u32_e32 vcc, 0, v27
	s_and_saveexec_b64 s[38:39], vcc
	s_cbranch_execz .LBB0_288
; %bb.277:                              ;   in Loop: Header=BB0_276 Depth=2
	s_waitcnt vmcnt(0)
	v_cmp_ne_u32_e32 vcc, v7, v13
	v_cmp_ne_u32_e64 s[16:17], v7, v15
	s_or_b64 s[16:17], vcc, s[16:17]
	v_mov_b32_e32 v27, 0
	s_and_saveexec_b64 s[40:41], s[16:17]
	s_cbranch_execz .LBB0_287
; %bb.278:                              ;   in Loop: Header=BB0_276 Depth=2
	s_mov_b32 s46, 1
	s_mov_b64 s[42:43], 0
	v_mov_b32_e32 v27, 0
	s_branch .LBB0_280
.LBB0_279:                              ;   in Loop: Header=BB0_280 Depth=3
	s_or_b64 exec, exec, s[44:45]
	s_and_b64 s[16:17], exec, s[16:17]
	s_or_b64 s[42:43], s[16:17], s[42:43]
	s_andn2_b64 exec, exec, s[42:43]
	s_cbranch_execz .LBB0_286
.LBB0_280:                              ;   Parent Loop BB0_57 Depth=1
                                        ;     Parent Loop BB0_276 Depth=2
                                        ; =>    This Inner Loop Header: Depth=3
	global_load_dwordx4 v[12:15], v[30:31], off glc slc
	s_add_i32 s46, s46, 1
	s_cmpk_lg_i32 s46, 0x2710
	s_cbranch_scc1 .LBB0_284
; %bb.281:                              ;   in Loop: Header=BB0_280 Depth=3
	s_trap 2
	ds_read_b64 v[48:49], v0
	s_waitcnt vmcnt(0) lgkmcnt(0)
	flat_load_dword v11, v[48:49] glc
	s_waitcnt vmcnt(0) lgkmcnt(0)
	buffer_invl2
	buffer_wbinvl1_vol
	v_cmp_ne_u32_e32 vcc, 0, v11
	s_and_saveexec_b64 s[16:17], vcc
	s_cbranch_execz .LBB0_283
; %bb.282:                              ;   in Loop: Header=BB0_280 Depth=3
	v_mov_b32_e32 v27, 1
	ds_write_b32 v0, v11
	s_trap 2
.LBB0_283:                              ;   in Loop: Header=BB0_280 Depth=3
	s_or_b64 exec, exec, s[16:17]
	s_mov_b32 s46, 0
	v_mov_b32_e32 v11, v27
	v_cmp_eq_u32_e32 vcc, 0, v11
	s_mov_b64 s[16:17], -1
	s_and_saveexec_b64 s[44:45], vcc
	s_cbranch_execz .LBB0_279
	s_branch .LBB0_285
.LBB0_284:                              ;   in Loop: Header=BB0_280 Depth=3
	v_mov_b32_e32 v11, 0
	v_cmp_eq_u32_e32 vcc, 0, v11
	s_mov_b64 s[16:17], -1
	s_and_saveexec_b64 s[44:45], vcc
	s_cbranch_execz .LBB0_279
.LBB0_285:                              ;   in Loop: Header=BB0_280 Depth=3
	s_waitcnt vmcnt(0)
	v_cmp_eq_u32_e32 vcc, v7, v13
	v_cmp_eq_u32_e64 s[16:17], v7, v15
	s_and_b64 s[16:17], vcc, s[16:17]
	s_orn2_b64 s[16:17], s[16:17], exec
	s_branch .LBB0_279
.LBB0_286:                              ;   in Loop: Header=BB0_276 Depth=2
	s_or_b64 exec, exec, s[42:43]
.LBB0_287:                              ;   in Loop: Header=BB0_276 Depth=2
	s_or_b64 exec, exec, s[40:41]
.LBB0_288:                              ;   in Loop: Header=BB0_276 Depth=2
	s_or_b64 exec, exec, s[38:39]
	v_cmp_lt_u32_e32 vcc, 7, v6
	v_cndmask_b32_e64 v11, 0, 1, vcc
	;;#ASMSTART
	;;#ASMEND
	v_cmp_ne_u32_e64 s[16:17], 0, v11
	s_waitcnt vmcnt(0)
	v_mov_b32_e32 v13, v14
	s_cmp_lg_u64 s[16:17], exec
	s_mov_b64 s[16:17], -1
	s_cbranch_scc0 .LBB0_298
; %bb.289:                              ;   in Loop: Header=BB0_276 Depth=2
	v_cmp_ne_u32_e64 s[16:17], 1, v6
	flat_store_byte v[0:1], v12
	s_and_saveexec_b64 s[38:39], s[16:17]
	s_cbranch_execnz .LBB0_300
; %bb.290:                              ;   in Loop: Header=BB0_276 Depth=2
	s_or_b64 exec, exec, s[38:39]
	v_cmp_lt_u32_e64 s[16:17], 2, v6
	s_and_saveexec_b64 s[38:39], s[16:17]
	s_cbranch_execnz .LBB0_301
.LBB0_291:                              ;   in Loop: Header=BB0_276 Depth=2
	s_or_b64 exec, exec, s[38:39]
	v_cmp_lt_u32_e64 s[16:17], 3, v6
	s_and_saveexec_b64 s[38:39], s[16:17]
	s_cbranch_execnz .LBB0_302
.LBB0_292:                              ;   in Loop: Header=BB0_276 Depth=2
	s_or_b64 exec, exec, s[38:39]
	v_cmp_lt_u32_e64 s[16:17], 4, v6
	s_and_saveexec_b64 s[38:39], s[16:17]
	s_cbranch_execnz .LBB0_303
.LBB0_293:                              ;   in Loop: Header=BB0_276 Depth=2
	s_or_b64 exec, exec, s[38:39]
	v_cmp_lt_u32_e64 s[16:17], 5, v6
	s_and_saveexec_b64 s[38:39], s[16:17]
	s_cbranch_execnz .LBB0_304
.LBB0_294:                              ;   in Loop: Header=BB0_276 Depth=2
	s_or_b64 exec, exec, s[38:39]
	v_cmp_lt_u32_e64 s[16:17], 6, v6
	s_and_saveexec_b64 s[38:39], s[16:17]
	s_cbranch_execnz .LBB0_305
.LBB0_295:                              ;   in Loop: Header=BB0_276 Depth=2
	s_or_b64 exec, exec, s[38:39]
	s_and_saveexec_b64 s[16:17], vcc
	s_cbranch_execz .LBB0_297
.LBB0_296:                              ;   in Loop: Header=BB0_276 Depth=2
	v_lshrrev_b32_e32 v11, 24, v13
	flat_store_byte v[0:1], v11 offset:7
.LBB0_297:                              ;   in Loop: Header=BB0_276 Depth=2
	s_or_b64 exec, exec, s[16:17]
	s_mov_b64 s[16:17], 0
.LBB0_298:                              ;   in Loop: Header=BB0_276 Depth=2
	s_and_b64 vcc, exec, s[16:17]
	s_cbranch_vccz .LBB0_275
; %bb.299:                              ;   in Loop: Header=BB0_276 Depth=2
	global_store_dwordx2 v[0:1], v[12:13], off
	s_branch .LBB0_275
.LBB0_300:                              ;   in Loop: Header=BB0_276 Depth=2
	v_lshrrev_b32_e32 v11, 8, v12
	flat_store_byte v[0:1], v11 offset:1
	s_or_b64 exec, exec, s[38:39]
	v_cmp_lt_u32_e64 s[16:17], 2, v6
	s_and_saveexec_b64 s[38:39], s[16:17]
	s_cbranch_execz .LBB0_291
.LBB0_301:                              ;   in Loop: Header=BB0_276 Depth=2
	flat_store_byte_d16_hi v[0:1], v12 offset:2
	s_or_b64 exec, exec, s[38:39]
	v_cmp_lt_u32_e64 s[16:17], 3, v6
	s_and_saveexec_b64 s[38:39], s[16:17]
	s_cbranch_execz .LBB0_292
.LBB0_302:                              ;   in Loop: Header=BB0_276 Depth=2
	v_lshrrev_b32_e32 v11, 24, v12
	flat_store_byte v[0:1], v11 offset:3
	s_or_b64 exec, exec, s[38:39]
	v_cmp_lt_u32_e64 s[16:17], 4, v6
	s_and_saveexec_b64 s[38:39], s[16:17]
	s_cbranch_execz .LBB0_293
.LBB0_303:                              ;   in Loop: Header=BB0_276 Depth=2
	flat_store_byte v[0:1], v14 offset:4
	s_or_b64 exec, exec, s[38:39]
	v_cmp_lt_u32_e64 s[16:17], 5, v6
	s_and_saveexec_b64 s[38:39], s[16:17]
	s_cbranch_execz .LBB0_294
.LBB0_304:                              ;   in Loop: Header=BB0_276 Depth=2
	v_lshrrev_b32_e32 v11, 8, v13
	flat_store_byte v[0:1], v11 offset:5
	s_or_b64 exec, exec, s[38:39]
	v_cmp_lt_u32_e64 s[16:17], 6, v6
	s_and_saveexec_b64 s[38:39], s[16:17]
	s_cbranch_execz .LBB0_295
.LBB0_305:                              ;   in Loop: Header=BB0_276 Depth=2
	flat_store_byte_d16_hi v[0:1], v13 offset:6
	s_or_b64 exec, exec, s[38:39]
	s_and_saveexec_b64 s[16:17], vcc
	s_cbranch_execnz .LBB0_296
	s_branch .LBB0_297
.LBB0_306:                              ;   in Loop: Header=BB0_57 Depth=1
	s_or_b64 exec, exec, s[36:37]
	s_or_b64 exec, exec, s[18:19]
	s_and_saveexec_b64 s[16:17], s[10:11]
	s_cbranch_execz .LBB0_273
.LBB0_307:                              ;   in Loop: Header=BB0_57 Depth=1
	s_and_saveexec_b64 s[18:19], s[28:29]
	s_xor_b64 s[18:19], exec, s[18:19]
	s_cbranch_execz .LBB0_322
; %bb.308:                              ;   in Loop: Header=BB0_57 Depth=1
	s_and_saveexec_b64 s[36:37], s[12:13]
	s_cbranch_execz .LBB0_321
; %bb.309:                              ;   in Loop: Header=BB0_57 Depth=1
	s_mov_b64 s[40:41], exec
	v_mbcnt_lo_u32_b32 v0, s40, 0
	v_mbcnt_hi_u32_b32 v0, s41, v0
	v_cmp_eq_u32_e32 vcc, 0, v0
	s_waitcnt vmcnt(0) lgkmcnt(0)
	buffer_wbinvl1_vol
	s_and_saveexec_b64 s[38:39], vcc
	s_cbranch_execz .LBB0_311
; %bb.310:                              ;   in Loop: Header=BB0_57 Depth=1
	s_bcnt1_i32_b64 vcc_lo, s[40:41]
	v_mov_b32_e32 v40, vcc_lo
	ds_add_u64 v0, v[40:41]
	s_trap 2
.LBB0_311:                              ;   in Loop: Header=BB0_57 Depth=1
	s_or_b64 exec, exec, s[38:39]
	s_trap 2
	ds_read_b64 v[0:1], v0
	v_accvgpr_read_b32 v6, a22
	v_add_co_u32_e32 v52, vcc, v52, v6
	v_accvgpr_read_b32 v7, a11
	v_addc_co_u32_e32 v53, vcc, v53, v7, vcc
	s_waitcnt lgkmcnt(0)
	v_cmp_lt_u64_e32 vcc, v[0:1], v[52:53]
	s_and_saveexec_b64 s[38:39], vcc
	s_cbranch_execz .LBB0_320
; %bb.312:                              ;   in Loop: Header=BB0_57 Depth=1
	s_mov_b32 s50, 0
	s_mov_b64 s[40:41], 0
                                        ; implicit-def: $sgpr42_sgpr43
                                        ; implicit-def: $sgpr44_sgpr45
	s_branch .LBB0_314
.LBB0_313:                              ;   in Loop: Header=BB0_314 Depth=2
	s_or_b64 exec, exec, s[48:49]
	s_and_b64 vcc, exec, vcc
	s_or_b64 s[40:41], vcc, s[40:41]
	s_andn2_b64 vcc, s[42:43], exec
	s_and_b64 s[42:43], s[44:45], exec
	s_or_b64 s[42:43], vcc, s[42:43]
	s_andn2_b64 exec, exec, s[40:41]
	s_cbranch_execz .LBB0_318
.LBB0_314:                              ;   Parent Loop BB0_57 Depth=1
                                        ; =>  This Inner Loop Header: Depth=2
	s_add_i32 s50, s50, 1
	s_cmpk_lg_i32 s50, 0x2710
	s_cselect_b64 s[46:47], -1, 0
	s_and_b64 vcc, exec, s[46:47]
                                        ; implicit-def: $sgpr48_sgpr49
	s_cbranch_vccnz .LBB0_316
; %bb.315:                              ;   in Loop: Header=BB0_314 Depth=2
	s_trap 2
	ds_read_b64 v[0:1], v0
	s_andn2_b64 s[46:47], s[46:47], exec
	s_mov_b32 s50, 0
	s_mov_b64 s[48:49], -1
	s_waitcnt lgkmcnt(0)
	flat_load_dword v0, v[0:1] glc
	s_waitcnt vmcnt(0) lgkmcnt(0)
	buffer_invl2
	buffer_wbinvl1_vol
	v_cmp_eq_u32_e32 vcc, 0, v0
	s_and_b64 vcc, vcc, exec
	s_or_b64 s[46:47], s[46:47], vcc
.LBB0_316:                              ;   in Loop: Header=BB0_314 Depth=2
	s_andn2_b64 s[44:45], s[44:45], exec
	s_and_b64 s[48:49], s[48:49], exec
	s_mov_b64 vcc, -1
	s_or_b64 s[44:45], s[44:45], s[48:49]
	s_and_saveexec_b64 s[48:49], s[46:47]
	s_cbranch_execz .LBB0_313
; %bb.317:                              ;   in Loop: Header=BB0_314 Depth=2
	s_sleep 1
	s_trap 2
	ds_read_b64 v[0:1], v0
	s_andn2_b64 s[44:45], s[44:45], exec
	s_waitcnt lgkmcnt(0)
	v_cmp_ge_u64_e32 vcc, v[0:1], v[52:53]
	s_orn2_b64 vcc, vcc, exec
	s_branch .LBB0_313
.LBB0_318:                              ;   in Loop: Header=BB0_57 Depth=1
	s_or_b64 exec, exec, s[40:41]
	s_and_saveexec_b64 vcc, s[42:43]
	s_xor_b64 vcc, exec, vcc
	s_cbranch_execz .LBB0_320
; %bb.319:                              ;   in Loop: Header=BB0_57 Depth=1
	v_mov_b32_e32 v0, 1
	ds_write_b32 v0, v0
	s_trap 2
.LBB0_320:                              ;   in Loop: Header=BB0_57 Depth=1
	s_or_b64 exec, exec, s[38:39]
	;;#ASMSTART
	s_wakeup
	;;#ASMEND
.LBB0_321:                              ;   in Loop: Header=BB0_57 Depth=1
	s_or_b64 exec, exec, s[36:37]
.LBB0_322:                              ;   in Loop: Header=BB0_57 Depth=1
	s_andn2_saveexec_b64 s[18:19], s[18:19]
	s_cbranch_execz .LBB0_324
; %bb.323:                              ;   in Loop: Header=BB0_57 Depth=1
	s_waitcnt vmcnt(0) lgkmcnt(0)
	buffer_wbinvl1_vol
	s_barrier
.LBB0_324:                              ;   in Loop: Header=BB0_57 Depth=1
	s_or_b64 exec, exec, s[18:19]
	s_or_b64 exec, exec, s[16:17]
	s_and_saveexec_b64 s[16:17], s[14:15]
	s_cbranch_execz .LBB0_56
.LBB0_325:                              ;   in Loop: Header=BB0_57 Depth=1
	v_add_co_u32_e32 v38, vcc, 1, v38
	v_accvgpr_read_b32 v0, a16
	v_addc_co_u32_e32 v39, vcc, 0, v39, vcc
	v_accvgpr_read_b32 v1, a17
	flat_store_dwordx2 v[0:1], v[38:39]
	s_branch .LBB0_56
.LBB0_326:
	s_or_b64 exec, exec, s[26:27]
	v_accvgpr_read_b32 v8, a12
	v_accvgpr_read_b32 v19, a15
	;; [unrolled: 1-line block ×6, first 2 shown]
.LBB0_327:
	s_or_b64 exec, exec, s[24:25]
; %bb.328:
	s_and_saveexec_b64 s[6:7], s[22:23]
	s_cbranch_execnz .LBB0_331
; %bb.329:
	s_or_b64 exec, exec, s[6:7]
	s_and_saveexec_b64 s[6:7], s[4:5]
	s_cbranch_execnz .LBB0_332
.LBB0_330:
	s_or_b64 exec, exec, s[6:7]
	v_cmp_ne_u32_e32 vcc, 64, v20
	s_and_saveexec_b64 s[4:5], vcc
	s_cbranch_execnz .LBB0_333
	s_branch .LBB0_350
.LBB0_331:
	s_waitcnt vmcnt(0) lgkmcnt(0)
	flat_store_dwordx2 v[18:19], v[38:39] offset:104
	s_or_b64 exec, exec, s[6:7]
	s_and_saveexec_b64 s[6:7], s[4:5]
	s_cbranch_execz .LBB0_330
.LBB0_332:
	s_waitcnt vmcnt(0) lgkmcnt(0)
	flat_store_dwordx2 v[8:9], v[4:5] offset:104
	s_or_b64 exec, exec, s[6:7]
	v_cmp_ne_u32_e32 vcc, 64, v20
	s_and_saveexec_b64 s[4:5], vcc
	s_cbranch_execz .LBB0_350
.LBB0_333:
	v_cmp_ne_u32_sdwa s[6:7], v14, v20 src0_sel:WORD_0 src1_sel:DWORD
	s_and_saveexec_b64 s[8:9], s[6:7]
	s_xor_b64 s[6:7], exec, s[8:9]
	s_cbranch_execz .LBB0_348
; %bb.334:
	v_and_b32_e32 v0, 63, v11
	v_cmp_eq_u32_e32 vcc, 0, v0
	s_and_saveexec_b64 s[8:9], vcc
	s_cbranch_execz .LBB0_347
; %bb.335:
	s_mov_b64 s[12:13], exec
	v_mbcnt_lo_u32_b32 v0, s12, 0
	v_mbcnt_hi_u32_b32 v0, s13, v0
	v_cmp_eq_u32_e32 vcc, 0, v0
	s_waitcnt vmcnt(0) lgkmcnt(0)
	buffer_wbinvl1_vol
	s_and_saveexec_b64 s[10:11], vcc
	s_cbranch_execz .LBB0_337
; %bb.336:
	s_bcnt1_i32_b64 s12, s[12:13]
	v_mov_b32_e32 v0, s12
	v_mov_b32_e32 v1, 0
	ds_add_u64 v0, v[0:1]
	s_trap 2
.LBB0_337:
	s_or_b64 exec, exec, s[10:11]
	v_ashrrev_i32_e32 v0, 31, v20
	v_lshrrev_b32_e32 v0, 26, v0
	v_add_u32_e32 v0, v20, v0
	v_ashrrev_i32_e32 v0, 6, v0
	s_trap 2
	ds_read_b64 v[2:3], v0
	v_ashrrev_i32_e32 v1, 31, v0
	v_add_co_u32_e32 v0, vcc, v52, v0
	v_addc_co_u32_e32 v1, vcc, v53, v1, vcc
	s_waitcnt lgkmcnt(0)
	v_cmp_lt_u64_e32 vcc, v[2:3], v[0:1]
	s_and_saveexec_b64 s[10:11], vcc
	s_cbranch_execz .LBB0_346
; %bb.338:
	s_mov_b32 s26, 0
	s_mov_b64 s[12:13], 0
                                        ; implicit-def: $sgpr14_sgpr15
                                        ; implicit-def: $sgpr16_sgpr17
	s_branch .LBB0_340
.LBB0_339:                              ;   in Loop: Header=BB0_340 Depth=1
	s_or_b64 exec, exec, s[24:25]
	s_and_b64 s[18:19], exec, s[22:23]
	s_or_b64 s[12:13], s[18:19], s[12:13]
	s_andn2_b64 s[14:15], s[14:15], exec
	s_and_b64 s[18:19], s[16:17], exec
	s_or_b64 s[14:15], s[14:15], s[18:19]
	s_andn2_b64 exec, exec, s[12:13]
	s_cbranch_execz .LBB0_344
.LBB0_340:                              ; =>This Inner Loop Header: Depth=1
	s_add_i32 s26, s26, 1
	s_cmpk_lg_i32 s26, 0x2710
	s_cselect_b64 s[18:19], -1, 0
	s_and_b64 vcc, exec, s[18:19]
                                        ; implicit-def: $sgpr24_sgpr25
	s_cbranch_vccnz .LBB0_342
; %bb.341:                              ;   in Loop: Header=BB0_340 Depth=1
	s_trap 2
	ds_read_b64 v[2:3], v0
	s_andn2_b64 s[18:19], s[18:19], exec
	s_mov_b32 s26, 0
	s_mov_b64 s[24:25], -1
	s_waitcnt lgkmcnt(0)
	flat_load_dword v2, v[2:3] glc
	s_waitcnt vmcnt(0) lgkmcnt(0)
	buffer_invl2
	buffer_wbinvl1_vol
	v_cmp_eq_u32_e32 vcc, 0, v2
	s_and_b64 s[22:23], vcc, exec
	s_or_b64 s[18:19], s[18:19], s[22:23]
.LBB0_342:                              ;   in Loop: Header=BB0_340 Depth=1
	s_andn2_b64 s[16:17], s[16:17], exec
	s_and_b64 s[24:25], s[24:25], exec
	s_mov_b64 s[22:23], -1
	s_or_b64 s[16:17], s[16:17], s[24:25]
	s_and_saveexec_b64 s[24:25], s[18:19]
	s_cbranch_execz .LBB0_339
; %bb.343:                              ;   in Loop: Header=BB0_340 Depth=1
	s_sleep 1
	s_trap 2
	ds_read_b64 v[2:3], v0
	s_andn2_b64 s[16:17], s[16:17], exec
	s_waitcnt lgkmcnt(0)
	v_cmp_ge_u64_e32 vcc, v[2:3], v[0:1]
	s_orn2_b64 s[22:23], vcc, exec
	s_branch .LBB0_339
.LBB0_344:
	s_or_b64 exec, exec, s[12:13]
	s_and_saveexec_b64 s[12:13], s[14:15]
	s_xor_b64 s[12:13], exec, s[12:13]
	s_cbranch_execz .LBB0_346
; %bb.345:
	v_mov_b32_e32 v0, 1
	ds_write_b32 v0, v0
	s_trap 2
.LBB0_346:
	s_or_b64 exec, exec, s[10:11]
	;;#ASMSTART
	s_wakeup
	;;#ASMEND
.LBB0_347:
	s_or_b64 exec, exec, s[8:9]
.LBB0_348:
	s_andn2_saveexec_b64 s[6:7], s[6:7]
	s_cbranch_execz .LBB0_350
; %bb.349:
	s_waitcnt vmcnt(0) lgkmcnt(0)
	buffer_wbinvl1_vol
	s_barrier
.LBB0_350:
	s_or_b64 exec, exec, s[4:5]
.LBB0_351:
	s_or_b64 exec, exec, s[20:21]
	buffer_load_dword a37, off, s[0:3], s32 ; 4-byte Folded Reload
	buffer_load_dword a36, off, s[0:3], s32 offset:4 ; 4-byte Folded Reload
	buffer_load_dword a35, off, s[0:3], s32 offset:8 ; 4-byte Folded Reload
	;; [unrolled: 1-line block ×20, first 2 shown]
	v_readlane_b32 s30, v63, 23
	v_readlane_b32 s31, v63, 24
	;; [unrolled: 1-line block ×25, first 2 shown]
	s_or_saveexec_b64 s[4:5], -1
	buffer_load_dword v63, off, s[0:3], s32 offset:84 ; 4-byte Folded Reload
	s_mov_b64 exec, s[4:5]
	s_waitcnt vmcnt(0) lgkmcnt(0)
	s_setpc_b64 s[30:31]
.Lfunc_end0:
	.size	_ZN12_GLOBAL__N_17runRingIa7FuncSumIaE7ProtoLLLi0ELi1ELi0ELb0EEEviiP15ncclDevWorkColl, .Lfunc_end0-_ZN12_GLOBAL__N_17runRingIa7FuncSumIaE7ProtoLLLi0ELi1ELi0ELb0EEEviiP15ncclDevWorkColl
                                        ; -- End function
	.section	.AMDGPU.csdata,"",@progbits
; Function info:
; codeLenInByte = 11440
; NumSgprs: 61
; NumVgprs: 64
; NumAgprs: 38
; TotalNumVgprs: 102
; ScratchSize: 92
; MemoryBound: 0
	.text
	.p2align	2                               ; -- Begin function _Z42ncclDevFunc_AllGather_RING_LL_Sum_i8_0_0_1v
	.type	_Z42ncclDevFunc_AllGather_RING_LL_Sum_i8_0_0_1v,@function
_Z42ncclDevFunc_AllGather_RING_LL_Sum_i8_0_0_1v: ; @_Z42ncclDevFunc_AllGather_RING_LL_Sum_i8_0_0_1v
; %bb.0:
	s_waitcnt vmcnt(0) expcnt(0) lgkmcnt(0)
	s_mov_b32 s4, s33
	s_mov_b32 s33, s32
	s_or_saveexec_b64 s[6:7], -1
	buffer_store_dword v43, off, s[0:3], s33 offset:16 ; 4-byte Folded Spill
	s_mov_b64 exec, s[6:7]
	v_writelane_b32 v43, s4, 33
	s_addk_i32 s32, 0x800
	buffer_store_dword v40, off, s[0:3], s33 offset:12 ; 4-byte Folded Spill
	buffer_store_dword v41, off, s[0:3], s33 offset:8 ; 4-byte Folded Spill
	buffer_store_dword v42, off, s[0:3], s33 offset:4 ; 4-byte Folded Spill
	buffer_store_dword v63, off, s[0:3], s33 ; 4-byte Folded Spill
	v_writelane_b32 v43, s34, 0
	v_writelane_b32 v43, s35, 1
	;; [unrolled: 1-line block ×33, first 2 shown]
	s_trap 2
	ds_read_b32 v0, v0
	v_mov_b32_e32 v40, v31
	s_mov_b32 s57, s12
	s_mov_b64 s[58:59], s[8:9]
	s_waitcnt lgkmcnt(0)
	v_cmp_gt_i32_e32 vcc, 1, v0
	s_cbranch_vccnz .LBB1_8
; %bb.1:
	s_mov_b32 s64, 0
	v_and_b32_e32 v41, 0x3ff, v40
	s_mov_b64 s[60:61], src_shared_base
	v_mov_b32_e32 v42, 6
	s_branch .LBB1_3
.LBB1_2:                                ;   in Loop: Header=BB1_3 Depth=1
	s_or_b64 exec, exec, s[62:63]
	s_trap 2
	ds_read_b32 v0, v0
	s_add_i32 s64, s64, 1
	s_waitcnt lgkmcnt(0)
	v_cmp_lt_i32_e32 vcc, s64, v0
	s_cbranch_vccz .LBB1_8
.LBB1_3:                                ; =>This Inner Loop Header: Depth=1
	s_trap 2
	ds_read_b32 v0, v0
	s_cmp_eq_u32 s64, 0
	s_cbranch_scc1 .LBB1_6
; %bb.4:                                ;   in Loop: Header=BB1_3 Depth=1
	s_trap 2
	s_waitcnt lgkmcnt(0)
	ds_read_b32 v1, v0
	s_waitcnt lgkmcnt(0)
	v_xor_b32_e32 v1, v1, v0
	v_and_b32_e32 v1, 0xff0000, v1
	v_cmp_eq_u32_e32 vcc, 0, v1
	s_cbranch_vccnz .LBB1_6
; %bb.5:                                ;   in Loop: Header=BB1_3 Depth=1
	s_barrier
	ds_read_b32 v0, v0
.LBB1_6:                                ;   in Loop: Header=BB1_3 Depth=1
	s_waitcnt lgkmcnt(0)
	v_lshlrev_b32_sdwa v1, v42, v0 dst_sel:DWORD dst_unused:UNUSED_PAD src0_sel:DWORD src1_sel:BYTE_2
	v_cmp_lt_u32_e32 vcc, v41, v1
	s_and_saveexec_b64 s[62:63], vcc
	s_cbranch_execz .LBB1_2
; %bb.7:                                ;   in Loop: Header=BB1_3 Depth=1
	s_mov_b64 s[8:9], s[58:59]
	s_mov_b32 s12, s57
	v_mov_b32_e32 v31, v40
	v_mov_b32_e32 v0, v41
	;; [unrolled: 1-line block ×3, first 2 shown]
	s_getpc_b64 s[4:5]
	s_add_u32 s4, s4, _ZN12_GLOBAL__N_17runRingIa7FuncSumIaE7ProtoLLLi0ELi1ELi0ELb0EEEviiP15ncclDevWorkColl@rel32@lo+4
	s_addc_u32 s5, s5, _ZN12_GLOBAL__N_17runRingIa7FuncSumIaE7ProtoLLLi0ELi1ELi0ELb0EEEviiP15ncclDevWorkColl@rel32@hi+12
	s_swappc_b64 s[30:31], s[4:5]
	s_branch .LBB1_2
.LBB1_8:
	buffer_load_dword v63, off, s[0:3], s33 ; 4-byte Folded Reload
	buffer_load_dword v42, off, s[0:3], s33 offset:4 ; 4-byte Folded Reload
	buffer_load_dword v41, off, s[0:3], s33 offset:8 ; 4-byte Folded Reload
	;; [unrolled: 1-line block ×3, first 2 shown]
	v_readlane_b32 s30, v43, 31
	v_readlane_b32 s31, v43, 32
	;; [unrolled: 1-line block ×34, first 2 shown]
	s_or_saveexec_b64 s[6:7], -1
	buffer_load_dword v43, off, s[0:3], s33 offset:16 ; 4-byte Folded Reload
	s_mov_b64 exec, s[6:7]
	s_addk_i32 s32, 0xf800
	s_mov_b32 s33, s4
	s_waitcnt vmcnt(0)
	s_setpc_b64 s[30:31]
.Lfunc_end1:
	.size	_Z42ncclDevFunc_AllGather_RING_LL_Sum_i8_0_0_1v, .Lfunc_end1-_Z42ncclDevFunc_AllGather_RING_LL_Sum_i8_0_0_1v
                                        ; -- End function
	.section	.AMDGPU.csdata,"",@progbits
; Function info:
; codeLenInByte = 908
; NumSgprs: 69
; NumVgprs: 64
; NumAgprs: 38
; TotalNumVgprs: 102
; ScratchSize: 124
; MemoryBound: 0
	.text
	.p2align	2                               ; -- Begin function __ockl_fprintf_append_string_n
	.type	__ockl_fprintf_append_string_n,@function
__ockl_fprintf_append_string_n:         ; @__ockl_fprintf_append_string_n
; %bb.0:
	s_waitcnt vmcnt(0) expcnt(0) lgkmcnt(0)
	v_mov_b32_e32 v9, v3
	v_mov_b32_e32 v8, v2
	v_or_b32_e32 v2, 2, v0
	v_cmp_eq_u32_e32 vcc, 0, v6
	s_mov_b32 s22, 0
	v_cndmask_b32_e32 v0, v2, v0, vcc
	s_mov_b64 s[6:7], 0
	v_cmp_ne_u64_e32 vcc, 0, v[8:9]
	v_mbcnt_lo_u32_b32 v2, -1, 0
	s_and_saveexec_b64 s[4:5], vcc
	s_xor_b64 s[10:11], exec, s[4:5]
	s_cbranch_execz .LBB2_86
; %bb.1:
	s_load_dwordx2 s[12:13], s[8:9], 0x50
	v_and_b32_e32 v6, 2, v0
	v_mov_b32_e32 v31, 0
	v_and_b32_e32 v0, -3, v0
	v_mbcnt_hi_u32_b32 v32, -1, v2
	s_movk_i32 s23, 0xff1f
	v_mov_b32_e32 v12, 2
	v_mov_b32_e32 v13, 1
	s_branch .LBB2_3
.LBB2_2:                                ;   in Loop: Header=BB2_3 Depth=1
	s_or_b64 exec, exec, s[16:17]
	v_sub_co_u32_e32 v4, vcc, v4, v34
	v_subb_co_u32_e32 v5, vcc, v5, v35, vcc
	v_cmp_eq_u64_e32 vcc, 0, v[4:5]
	s_or_b64 s[6:7], vcc, s[6:7]
	v_add_co_u32_e32 v8, vcc, v8, v34
	v_addc_co_u32_e32 v9, vcc, v9, v35, vcc
	s_andn2_b64 exec, exec, s[6:7]
	s_cbranch_execz .LBB2_85
.LBB2_3:                                ; =>This Loop Header: Depth=1
                                        ;     Child Loop BB2_6 Depth 2
                                        ;     Child Loop BB2_14 Depth 2
	;; [unrolled: 1-line block ×11, first 2 shown]
	v_cmp_gt_u64_e32 vcc, 56, v[4:5]
	v_cndmask_b32_e32 v35, 0, v5, vcc
	v_cndmask_b32_e32 v34, 56, v4, vcc
	v_cmp_gt_u64_e32 vcc, 8, v[4:5]
                                        ; implicit-def: $vgpr2_vgpr3
                                        ; implicit-def: $sgpr14
	s_and_saveexec_b64 s[4:5], vcc
	s_xor_b64 s[4:5], exec, s[4:5]
	s_cbranch_execz .LBB2_9
; %bb.4:                                ;   in Loop: Header=BB2_3 Depth=1
	s_mov_b64 s[16:17], 0
	v_cmp_ne_u64_e32 vcc, 0, v[4:5]
	s_waitcnt vmcnt(0)
	v_pk_mov_b32 v[2:3], 0, 0
	s_and_saveexec_b64 s[14:15], vcc
	s_cbranch_execz .LBB2_8
; %bb.5:                                ;   in Loop: Header=BB2_3 Depth=1
	v_lshlrev_b64 v[10:11], 3, v[34:35]
	v_pk_mov_b32 v[2:3], 0, 0
	v_pk_mov_b32 v[14:15], v[8:9], v[8:9] op_sel:[0,1]
	s_mov_b64 s[18:19], 0
.LBB2_6:                                ;   Parent Loop BB2_3 Depth=1
                                        ; =>  This Inner Loop Header: Depth=2
	flat_load_ubyte v7, v[14:15]
	v_mov_b32_e32 v17, s22
	v_add_co_u32_e32 v14, vcc, 1, v14
	v_addc_co_u32_e32 v15, vcc, 0, v15, vcc
	s_waitcnt vmcnt(0) lgkmcnt(0)
	v_and_b32_e32 v16, 0xffff, v7
	v_lshlrev_b64 v[16:17], s18, v[16:17]
	s_add_u32 s18, s18, 8
	s_addc_u32 s19, s19, 0
	v_cmp_eq_u32_e32 vcc, s18, v10
	v_or_b32_e32 v3, v17, v3
	s_or_b64 s[16:17], vcc, s[16:17]
	v_or_b32_e32 v2, v16, v2
	s_andn2_b64 exec, exec, s[16:17]
	s_cbranch_execnz .LBB2_6
; %bb.7:                                ;   in Loop: Header=BB2_3 Depth=1
	s_or_b64 exec, exec, s[16:17]
.LBB2_8:                                ;   in Loop: Header=BB2_3 Depth=1
	s_or_b64 exec, exec, s[14:15]
	s_mov_b32 s14, 0
.LBB2_9:                                ;   in Loop: Header=BB2_3 Depth=1
	s_or_saveexec_b64 s[4:5], s[4:5]
	v_mov_b32_e32 v7, s14
	v_pk_mov_b32 v[10:11], v[8:9], v[8:9] op_sel:[0,1]
	s_xor_b64 exec, exec, s[4:5]
	s_cbranch_execz .LBB2_11
; %bb.10:                               ;   in Loop: Header=BB2_3 Depth=1
	s_waitcnt vmcnt(0)
	flat_load_dwordx2 v[2:3], v[8:9]
	v_add_u32_e32 v7, -8, v34
	s_waitcnt vmcnt(0) lgkmcnt(0)
	v_and_b32_e32 v10, 0xff, v3
	v_and_b32_e32 v11, 0xff00, v3
	;; [unrolled: 1-line block ×4, first 2 shown]
	v_or_b32_e32 v10, v10, v11
	v_or3_b32 v3, v10, v14, v3
	v_add_co_u32_e32 v10, vcc, 8, v8
	v_or3_b32 v2, v2, 0, 0
	v_addc_co_u32_e32 v11, vcc, 0, v9, vcc
.LBB2_11:                               ;   in Loop: Header=BB2_3 Depth=1
	s_or_b64 exec, exec, s[4:5]
	v_cmp_gt_u32_e32 vcc, 8, v7
                                        ; implicit-def: $vgpr14_vgpr15
                                        ; implicit-def: $sgpr14
	s_and_saveexec_b64 s[4:5], vcc
	s_xor_b64 s[4:5], exec, s[4:5]
	s_cbranch_execz .LBB2_17
; %bb.12:                               ;   in Loop: Header=BB2_3 Depth=1
	v_cmp_ne_u32_e32 vcc, 0, v7
	v_pk_mov_b32 v[14:15], 0, 0
	s_and_saveexec_b64 s[14:15], vcc
	s_cbranch_execz .LBB2_16
; %bb.13:                               ;   in Loop: Header=BB2_3 Depth=1
	s_mov_b64 s[16:17], 0
	v_pk_mov_b32 v[14:15], 0, 0
	s_mov_b64 s[18:19], 0
	s_mov_b64 s[20:21], 0
.LBB2_14:                               ;   Parent Loop BB2_3 Depth=1
                                        ; =>  This Inner Loop Header: Depth=2
	v_mov_b32_e32 v17, s21
	v_add_co_u32_e32 v16, vcc, s20, v10
	v_addc_co_u32_e32 v17, vcc, v11, v17, vcc
	flat_load_ubyte v16, v[16:17]
	s_add_u32 s20, s20, 1
	v_mov_b32_e32 v17, s22
	s_addc_u32 s21, s21, 0
	v_cmp_eq_u32_e32 vcc, s20, v7
	s_waitcnt vmcnt(0) lgkmcnt(0)
	v_and_b32_e32 v16, 0xffff, v16
	v_lshlrev_b64 v[16:17], s18, v[16:17]
	s_add_u32 s18, s18, 8
	s_addc_u32 s19, s19, 0
	v_or_b32_e32 v15, v17, v15
	s_or_b64 s[16:17], vcc, s[16:17]
	v_or_b32_e32 v14, v16, v14
	s_andn2_b64 exec, exec, s[16:17]
	s_cbranch_execnz .LBB2_14
; %bb.15:                               ;   in Loop: Header=BB2_3 Depth=1
	s_or_b64 exec, exec, s[16:17]
.LBB2_16:                               ;   in Loop: Header=BB2_3 Depth=1
	s_or_b64 exec, exec, s[14:15]
	s_mov_b32 s14, 0
                                        ; implicit-def: $vgpr7
.LBB2_17:                               ;   in Loop: Header=BB2_3 Depth=1
	s_or_saveexec_b64 s[4:5], s[4:5]
	v_mov_b32_e32 v18, s14
	s_xor_b64 exec, exec, s[4:5]
	s_cbranch_execz .LBB2_19
; %bb.18:                               ;   in Loop: Header=BB2_3 Depth=1
	flat_load_dwordx2 v[14:15], v[10:11]
	v_add_u32_e32 v18, -8, v7
	v_add_co_u32_e32 v10, vcc, 8, v10
	v_addc_co_u32_e32 v11, vcc, 0, v11, vcc
	s_waitcnt vmcnt(0) lgkmcnt(0)
	v_and_b32_e32 v7, 0xff, v15
	v_and_b32_e32 v16, 0xff00, v15
	;; [unrolled: 1-line block ×4, first 2 shown]
	v_or_b32_e32 v7, v7, v16
	v_or3_b32 v14, v14, 0, 0
	v_or3_b32 v15, v7, v17, v15
.LBB2_19:                               ;   in Loop: Header=BB2_3 Depth=1
	s_or_b64 exec, exec, s[4:5]
	v_cmp_gt_u32_e32 vcc, 8, v18
                                        ; implicit-def: $sgpr14
	s_and_saveexec_b64 s[4:5], vcc
	s_xor_b64 s[4:5], exec, s[4:5]
	s_cbranch_execz .LBB2_25
; %bb.20:                               ;   in Loop: Header=BB2_3 Depth=1
	v_cmp_ne_u32_e32 vcc, 0, v18
	v_pk_mov_b32 v[16:17], 0, 0
	s_and_saveexec_b64 s[14:15], vcc
	s_cbranch_execz .LBB2_24
; %bb.21:                               ;   in Loop: Header=BB2_3 Depth=1
	s_mov_b64 s[16:17], 0
	v_pk_mov_b32 v[16:17], 0, 0
	s_mov_b64 s[18:19], 0
	s_mov_b64 s[20:21], 0
.LBB2_22:                               ;   Parent Loop BB2_3 Depth=1
                                        ; =>  This Inner Loop Header: Depth=2
	v_mov_b32_e32 v7, s21
	v_add_co_u32_e32 v20, vcc, s20, v10
	v_addc_co_u32_e32 v21, vcc, v11, v7, vcc
	flat_load_ubyte v7, v[20:21]
	s_add_u32 s20, s20, 1
	v_mov_b32_e32 v21, s22
	s_addc_u32 s21, s21, 0
	v_cmp_eq_u32_e32 vcc, s20, v18
	s_waitcnt vmcnt(0) lgkmcnt(0)
	v_and_b32_e32 v20, 0xffff, v7
	v_lshlrev_b64 v[20:21], s18, v[20:21]
	s_add_u32 s18, s18, 8
	s_addc_u32 s19, s19, 0
	v_or_b32_e32 v17, v21, v17
	s_or_b64 s[16:17], vcc, s[16:17]
	v_or_b32_e32 v16, v20, v16
	s_andn2_b64 exec, exec, s[16:17]
	s_cbranch_execnz .LBB2_22
; %bb.23:                               ;   in Loop: Header=BB2_3 Depth=1
	s_or_b64 exec, exec, s[16:17]
.LBB2_24:                               ;   in Loop: Header=BB2_3 Depth=1
	s_or_b64 exec, exec, s[14:15]
	s_mov_b32 s14, 0
                                        ; implicit-def: $vgpr18
.LBB2_25:                               ;   in Loop: Header=BB2_3 Depth=1
	s_or_saveexec_b64 s[4:5], s[4:5]
	v_mov_b32_e32 v7, s14
	s_xor_b64 exec, exec, s[4:5]
	s_cbranch_execz .LBB2_27
; %bb.26:                               ;   in Loop: Header=BB2_3 Depth=1
	flat_load_dwordx2 v[16:17], v[10:11]
	v_add_u32_e32 v7, -8, v18
	v_add_co_u32_e32 v10, vcc, 8, v10
	v_addc_co_u32_e32 v11, vcc, 0, v11, vcc
	s_waitcnt vmcnt(0) lgkmcnt(0)
	v_and_b32_e32 v18, 0xff, v17
	v_and_b32_e32 v19, 0xff00, v17
	;; [unrolled: 1-line block ×4, first 2 shown]
	v_or_b32_e32 v18, v18, v19
	v_or3_b32 v16, v16, 0, 0
	v_or3_b32 v17, v18, v20, v17
.LBB2_27:                               ;   in Loop: Header=BB2_3 Depth=1
	s_or_b64 exec, exec, s[4:5]
	v_cmp_gt_u32_e32 vcc, 8, v7
                                        ; implicit-def: $vgpr18_vgpr19
                                        ; implicit-def: $sgpr14
	s_and_saveexec_b64 s[4:5], vcc
	s_xor_b64 s[4:5], exec, s[4:5]
	s_cbranch_execz .LBB2_33
; %bb.28:                               ;   in Loop: Header=BB2_3 Depth=1
	v_cmp_ne_u32_e32 vcc, 0, v7
	v_pk_mov_b32 v[18:19], 0, 0
	s_and_saveexec_b64 s[14:15], vcc
	s_cbranch_execz .LBB2_32
; %bb.29:                               ;   in Loop: Header=BB2_3 Depth=1
	s_mov_b64 s[16:17], 0
	v_pk_mov_b32 v[18:19], 0, 0
	s_mov_b64 s[18:19], 0
	s_mov_b64 s[20:21], 0
.LBB2_30:                               ;   Parent Loop BB2_3 Depth=1
                                        ; =>  This Inner Loop Header: Depth=2
	v_mov_b32_e32 v21, s21
	v_add_co_u32_e32 v20, vcc, s20, v10
	v_addc_co_u32_e32 v21, vcc, v11, v21, vcc
	flat_load_ubyte v20, v[20:21]
	s_add_u32 s20, s20, 1
	v_mov_b32_e32 v21, s22
	s_addc_u32 s21, s21, 0
	v_cmp_eq_u32_e32 vcc, s20, v7
	s_waitcnt vmcnt(0) lgkmcnt(0)
	v_and_b32_e32 v20, 0xffff, v20
	v_lshlrev_b64 v[20:21], s18, v[20:21]
	s_add_u32 s18, s18, 8
	s_addc_u32 s19, s19, 0
	v_or_b32_e32 v19, v21, v19
	s_or_b64 s[16:17], vcc, s[16:17]
	v_or_b32_e32 v18, v20, v18
	s_andn2_b64 exec, exec, s[16:17]
	s_cbranch_execnz .LBB2_30
; %bb.31:                               ;   in Loop: Header=BB2_3 Depth=1
	s_or_b64 exec, exec, s[16:17]
.LBB2_32:                               ;   in Loop: Header=BB2_3 Depth=1
	s_or_b64 exec, exec, s[14:15]
	s_mov_b32 s14, 0
                                        ; implicit-def: $vgpr7
.LBB2_33:                               ;   in Loop: Header=BB2_3 Depth=1
	s_or_saveexec_b64 s[4:5], s[4:5]
	v_mov_b32_e32 v22, s14
	s_xor_b64 exec, exec, s[4:5]
	s_cbranch_execz .LBB2_35
; %bb.34:                               ;   in Loop: Header=BB2_3 Depth=1
	flat_load_dwordx2 v[18:19], v[10:11]
	v_add_u32_e32 v22, -8, v7
	v_add_co_u32_e32 v10, vcc, 8, v10
	v_addc_co_u32_e32 v11, vcc, 0, v11, vcc
	s_waitcnt vmcnt(0) lgkmcnt(0)
	v_and_b32_e32 v7, 0xff, v19
	v_and_b32_e32 v20, 0xff00, v19
	;; [unrolled: 1-line block ×4, first 2 shown]
	v_or_b32_e32 v7, v7, v20
	v_or3_b32 v18, v18, 0, 0
	v_or3_b32 v19, v7, v21, v19
.LBB2_35:                               ;   in Loop: Header=BB2_3 Depth=1
	s_or_b64 exec, exec, s[4:5]
	v_cmp_gt_u32_e32 vcc, 8, v22
                                        ; implicit-def: $sgpr14
	s_and_saveexec_b64 s[4:5], vcc
	s_xor_b64 s[4:5], exec, s[4:5]
	s_cbranch_execz .LBB2_41
; %bb.36:                               ;   in Loop: Header=BB2_3 Depth=1
	v_cmp_ne_u32_e32 vcc, 0, v22
	v_pk_mov_b32 v[20:21], 0, 0
	s_and_saveexec_b64 s[14:15], vcc
	s_cbranch_execz .LBB2_40
; %bb.37:                               ;   in Loop: Header=BB2_3 Depth=1
	s_mov_b64 s[16:17], 0
	v_pk_mov_b32 v[20:21], 0, 0
	s_mov_b64 s[18:19], 0
	s_mov_b64 s[20:21], 0
.LBB2_38:                               ;   Parent Loop BB2_3 Depth=1
                                        ; =>  This Inner Loop Header: Depth=2
	v_mov_b32_e32 v7, s21
	v_add_co_u32_e32 v24, vcc, s20, v10
	v_addc_co_u32_e32 v25, vcc, v11, v7, vcc
	flat_load_ubyte v7, v[24:25]
	s_add_u32 s20, s20, 1
	v_mov_b32_e32 v25, s22
	s_addc_u32 s21, s21, 0
	v_cmp_eq_u32_e32 vcc, s20, v22
	s_waitcnt vmcnt(0) lgkmcnt(0)
	v_and_b32_e32 v24, 0xffff, v7
	v_lshlrev_b64 v[24:25], s18, v[24:25]
	s_add_u32 s18, s18, 8
	s_addc_u32 s19, s19, 0
	v_or_b32_e32 v21, v25, v21
	s_or_b64 s[16:17], vcc, s[16:17]
	v_or_b32_e32 v20, v24, v20
	s_andn2_b64 exec, exec, s[16:17]
	s_cbranch_execnz .LBB2_38
; %bb.39:                               ;   in Loop: Header=BB2_3 Depth=1
	s_or_b64 exec, exec, s[16:17]
.LBB2_40:                               ;   in Loop: Header=BB2_3 Depth=1
	s_or_b64 exec, exec, s[14:15]
	s_mov_b32 s14, 0
                                        ; implicit-def: $vgpr22
.LBB2_41:                               ;   in Loop: Header=BB2_3 Depth=1
	s_or_saveexec_b64 s[4:5], s[4:5]
	v_mov_b32_e32 v7, s14
	s_xor_b64 exec, exec, s[4:5]
	s_cbranch_execz .LBB2_43
; %bb.42:                               ;   in Loop: Header=BB2_3 Depth=1
	flat_load_dwordx2 v[20:21], v[10:11]
	v_add_u32_e32 v7, -8, v22
	v_add_co_u32_e32 v10, vcc, 8, v10
	v_addc_co_u32_e32 v11, vcc, 0, v11, vcc
	s_waitcnt vmcnt(0) lgkmcnt(0)
	v_and_b32_e32 v22, 0xff, v21
	v_and_b32_e32 v23, 0xff00, v21
	;; [unrolled: 1-line block ×4, first 2 shown]
	v_or_b32_e32 v22, v22, v23
	v_or3_b32 v20, v20, 0, 0
	v_or3_b32 v21, v22, v24, v21
.LBB2_43:                               ;   in Loop: Header=BB2_3 Depth=1
	s_or_b64 exec, exec, s[4:5]
	v_cmp_gt_u32_e32 vcc, 8, v7
                                        ; implicit-def: $vgpr22_vgpr23
                                        ; implicit-def: $sgpr14
	s_and_saveexec_b64 s[4:5], vcc
	s_xor_b64 s[4:5], exec, s[4:5]
	s_cbranch_execz .LBB2_49
; %bb.44:                               ;   in Loop: Header=BB2_3 Depth=1
	v_cmp_ne_u32_e32 vcc, 0, v7
	v_pk_mov_b32 v[22:23], 0, 0
	s_and_saveexec_b64 s[14:15], vcc
	s_cbranch_execz .LBB2_48
; %bb.45:                               ;   in Loop: Header=BB2_3 Depth=1
	s_mov_b64 s[16:17], 0
	v_pk_mov_b32 v[22:23], 0, 0
	s_mov_b64 s[18:19], 0
	s_mov_b64 s[20:21], 0
.LBB2_46:                               ;   Parent Loop BB2_3 Depth=1
                                        ; =>  This Inner Loop Header: Depth=2
	v_mov_b32_e32 v25, s21
	v_add_co_u32_e32 v24, vcc, s20, v10
	v_addc_co_u32_e32 v25, vcc, v11, v25, vcc
	flat_load_ubyte v24, v[24:25]
	s_add_u32 s20, s20, 1
	v_mov_b32_e32 v25, s22
	s_addc_u32 s21, s21, 0
	v_cmp_eq_u32_e32 vcc, s20, v7
	s_waitcnt vmcnt(0) lgkmcnt(0)
	v_and_b32_e32 v24, 0xffff, v24
	v_lshlrev_b64 v[24:25], s18, v[24:25]
	s_add_u32 s18, s18, 8
	s_addc_u32 s19, s19, 0
	v_or_b32_e32 v23, v25, v23
	s_or_b64 s[16:17], vcc, s[16:17]
	v_or_b32_e32 v22, v24, v22
	s_andn2_b64 exec, exec, s[16:17]
	s_cbranch_execnz .LBB2_46
; %bb.47:                               ;   in Loop: Header=BB2_3 Depth=1
	s_or_b64 exec, exec, s[16:17]
.LBB2_48:                               ;   in Loop: Header=BB2_3 Depth=1
	s_or_b64 exec, exec, s[14:15]
	s_mov_b32 s14, 0
                                        ; implicit-def: $vgpr7
.LBB2_49:                               ;   in Loop: Header=BB2_3 Depth=1
	s_or_saveexec_b64 s[4:5], s[4:5]
	v_mov_b32_e32 v26, s14
	s_xor_b64 exec, exec, s[4:5]
	s_cbranch_execz .LBB2_51
; %bb.50:                               ;   in Loop: Header=BB2_3 Depth=1
	flat_load_dwordx2 v[22:23], v[10:11]
	v_add_u32_e32 v26, -8, v7
	v_add_co_u32_e32 v10, vcc, 8, v10
	v_addc_co_u32_e32 v11, vcc, 0, v11, vcc
	s_waitcnt vmcnt(0) lgkmcnt(0)
	v_and_b32_e32 v7, 0xff, v23
	v_and_b32_e32 v24, 0xff00, v23
	;; [unrolled: 1-line block ×4, first 2 shown]
	v_or_b32_e32 v7, v7, v24
	v_or3_b32 v22, v22, 0, 0
	v_or3_b32 v23, v7, v25, v23
.LBB2_51:                               ;   in Loop: Header=BB2_3 Depth=1
	s_or_b64 exec, exec, s[4:5]
	v_cmp_gt_u32_e32 vcc, 8, v26
	s_and_saveexec_b64 s[4:5], vcc
	s_xor_b64 s[4:5], exec, s[4:5]
	s_cbranch_execz .LBB2_57
; %bb.52:                               ;   in Loop: Header=BB2_3 Depth=1
	v_cmp_ne_u32_e32 vcc, 0, v26
	v_pk_mov_b32 v[24:25], 0, 0
	s_and_saveexec_b64 s[14:15], vcc
	s_cbranch_execz .LBB2_56
; %bb.53:                               ;   in Loop: Header=BB2_3 Depth=1
	s_mov_b64 s[16:17], 0
	v_pk_mov_b32 v[24:25], 0, 0
	s_mov_b64 s[18:19], 0
.LBB2_54:                               ;   Parent Loop BB2_3 Depth=1
                                        ; =>  This Inner Loop Header: Depth=2
	flat_load_ubyte v7, v[10:11]
	v_mov_b32_e32 v29, s22
	v_add_co_u32_e32 v10, vcc, 1, v10
	v_add_u32_e32 v26, -1, v26
	v_addc_co_u32_e32 v11, vcc, 0, v11, vcc
	v_cmp_eq_u32_e32 vcc, 0, v26
	s_waitcnt vmcnt(0) lgkmcnt(0)
	v_and_b32_e32 v28, 0xffff, v7
	v_lshlrev_b64 v[28:29], s18, v[28:29]
	s_add_u32 s18, s18, 8
	s_addc_u32 s19, s19, 0
	v_or_b32_e32 v25, v29, v25
	s_or_b64 s[16:17], vcc, s[16:17]
	v_or_b32_e32 v24, v28, v24
	s_andn2_b64 exec, exec, s[16:17]
	s_cbranch_execnz .LBB2_54
; %bb.55:                               ;   in Loop: Header=BB2_3 Depth=1
	s_or_b64 exec, exec, s[16:17]
.LBB2_56:                               ;   in Loop: Header=BB2_3 Depth=1
	s_or_b64 exec, exec, s[14:15]
                                        ; implicit-def: $vgpr10_vgpr11
.LBB2_57:                               ;   in Loop: Header=BB2_3 Depth=1
	s_andn2_saveexec_b64 s[4:5], s[4:5]
	s_cbranch_execz .LBB2_59
; %bb.58:                               ;   in Loop: Header=BB2_3 Depth=1
	flat_load_dwordx2 v[10:11], v[10:11]
	s_waitcnt vmcnt(0) lgkmcnt(0)
	v_and_b32_e32 v7, 0xff, v11
	v_and_b32_e32 v24, 0xff00, v11
	v_and_b32_e32 v25, 0xff0000, v11
	v_and_b32_e32 v11, 0xff000000, v11
	v_or_b32_e32 v7, v7, v24
	v_or3_b32 v25, v7, v25, v11
	v_or3_b32 v24, v10, 0, 0
.LBB2_59:                               ;   in Loop: Header=BB2_3 Depth=1
	s_or_b64 exec, exec, s[4:5]
	v_readfirstlane_b32 s4, v32
	v_cmp_eq_u32_e64 s[4:5], s4, v32
	v_pk_mov_b32 v[10:11], 0, 0
	s_and_saveexec_b64 s[14:15], s[4:5]
	s_cbranch_execz .LBB2_65
; %bb.60:                               ;   in Loop: Header=BB2_3 Depth=1
	s_waitcnt lgkmcnt(0)
	global_load_dwordx2 v[28:29], v31, s[12:13] offset:24 glc
	s_waitcnt vmcnt(0)
	buffer_invl2
	buffer_wbinvl1_vol
	global_load_dwordx2 v[10:11], v31, s[12:13] offset:40
	global_load_dwordx2 v[26:27], v31, s[12:13]
	s_waitcnt vmcnt(1)
	v_and_b32_e32 v7, v10, v28
	v_and_b32_e32 v10, v11, v29
	v_mul_lo_u32 v10, v10, 24
	v_mul_hi_u32 v11, v7, 24
	v_mul_lo_u32 v7, v7, 24
	v_add_u32_e32 v11, v11, v10
	s_waitcnt vmcnt(0)
	v_add_co_u32_e32 v10, vcc, v26, v7
	v_addc_co_u32_e32 v11, vcc, v27, v11, vcc
	global_load_dwordx2 v[26:27], v[10:11], off glc
	s_waitcnt vmcnt(0)
	global_atomic_cmpswap_x2 v[10:11], v31, v[26:29], s[12:13] offset:24 glc
	s_waitcnt vmcnt(0)
	buffer_invl2
	buffer_wbinvl1_vol
	v_cmp_ne_u64_e32 vcc, v[10:11], v[28:29]
	s_and_saveexec_b64 s[16:17], vcc
	s_cbranch_execz .LBB2_64
; %bb.61:                               ;   in Loop: Header=BB2_3 Depth=1
	s_mov_b64 s[18:19], 0
.LBB2_62:                               ;   Parent Loop BB2_3 Depth=1
                                        ; =>  This Inner Loop Header: Depth=2
	s_sleep 1
	global_load_dwordx2 v[26:27], v31, s[12:13] offset:40
	global_load_dwordx2 v[36:37], v31, s[12:13]
	v_pk_mov_b32 v[28:29], v[10:11], v[10:11] op_sel:[0,1]
	s_waitcnt vmcnt(1)
	v_and_b32_e32 v10, v26, v28
	s_waitcnt vmcnt(0)
	v_mad_u64_u32 v[10:11], s[20:21], v10, 24, v[36:37]
	v_and_b32_e32 v7, v27, v29
	v_mov_b32_e32 v26, v11
	v_mad_u64_u32 v[26:27], s[20:21], v7, 24, v[26:27]
	v_mov_b32_e32 v11, v26
	global_load_dwordx2 v[26:27], v[10:11], off glc
	s_waitcnt vmcnt(0)
	global_atomic_cmpswap_x2 v[10:11], v31, v[26:29], s[12:13] offset:24 glc
	s_waitcnt vmcnt(0)
	buffer_invl2
	buffer_wbinvl1_vol
	v_cmp_eq_u64_e32 vcc, v[10:11], v[28:29]
	s_or_b64 s[18:19], vcc, s[18:19]
	s_andn2_b64 exec, exec, s[18:19]
	s_cbranch_execnz .LBB2_62
; %bb.63:                               ;   in Loop: Header=BB2_3 Depth=1
	s_or_b64 exec, exec, s[18:19]
.LBB2_64:                               ;   in Loop: Header=BB2_3 Depth=1
	s_or_b64 exec, exec, s[16:17]
.LBB2_65:                               ;   in Loop: Header=BB2_3 Depth=1
	s_or_b64 exec, exec, s[14:15]
	s_waitcnt lgkmcnt(0)
	global_load_dwordx2 v[36:37], v31, s[12:13] offset:40
	global_load_dwordx4 v[26:29], v31, s[12:13]
	v_readfirstlane_b32 s14, v10
	v_readfirstlane_b32 s15, v11
	s_mov_b64 s[16:17], exec
	s_waitcnt vmcnt(1)
	v_readfirstlane_b32 s18, v36
	v_readfirstlane_b32 s19, v37
	s_and_b64 s[18:19], s[14:15], s[18:19]
	s_mul_i32 s20, s19, 24
	s_mul_hi_u32 s21, s18, 24
	s_mul_i32 s24, s18, 24
	s_add_i32 s20, s21, s20
	v_mov_b32_e32 v7, s20
	s_waitcnt vmcnt(0)
	v_add_co_u32_e32 v36, vcc, s24, v26
	v_addc_co_u32_e32 v37, vcc, v27, v7, vcc
	s_and_saveexec_b64 s[20:21], s[4:5]
	s_cbranch_execz .LBB2_67
; %bb.66:                               ;   in Loop: Header=BB2_3 Depth=1
	v_pk_mov_b32 v[10:11], s[16:17], s[16:17] op_sel:[0,1]
	global_store_dwordx4 v[36:37], v[10:13], off offset:8
.LBB2_67:                               ;   in Loop: Header=BB2_3 Depth=1
	s_or_b64 exec, exec, s[20:21]
	s_lshl_b64 s[16:17], s[18:19], 12
	v_mov_b32_e32 v7, s17
	v_add_co_u32_e32 v10, vcc, s16, v28
	v_addc_co_u32_e32 v7, vcc, v29, v7, vcc
	v_or_b32_e32 v11, 0, v1
	v_cmp_lt_u64_e32 vcc, 56, v[4:5]
	v_or_b32_e32 v28, v0, v6
	v_cndmask_b32_e32 v1, v11, v1, vcc
	v_lshl_add_u32 v11, v34, 2, 28
	v_cndmask_b32_e32 v0, v28, v0, vcc
	v_and_b32_e32 v11, 0x1e0, v11
	v_and_or_b32 v0, v0, s23, v11
	v_lshlrev_b32_e32 v11, 6, v32
	v_readfirstlane_b32 s16, v10
	v_readfirstlane_b32 s17, v7
	s_nop 4
	global_store_dwordx4 v11, v[0:3], s[16:17]
	global_store_dwordx4 v11, v[14:17], s[16:17] offset:16
	global_store_dwordx4 v11, v[18:21], s[16:17] offset:32
	;; [unrolled: 1-line block ×3, first 2 shown]
	s_and_saveexec_b64 s[16:17], s[4:5]
	s_cbranch_execz .LBB2_75
; %bb.68:                               ;   in Loop: Header=BB2_3 Depth=1
	global_load_dwordx2 v[18:19], v31, s[12:13] offset:32 glc
	global_load_dwordx2 v[0:1], v31, s[12:13] offset:40
	v_mov_b32_e32 v16, s14
	v_mov_b32_e32 v17, s15
	s_waitcnt vmcnt(0)
	v_readfirstlane_b32 s18, v0
	v_readfirstlane_b32 s19, v1
	s_and_b64 s[18:19], s[18:19], s[14:15]
	s_mul_i32 s19, s19, 24
	s_mul_hi_u32 s20, s18, 24
	s_mul_i32 s18, s18, 24
	s_add_i32 s19, s20, s19
	v_mov_b32_e32 v0, s19
	v_add_co_u32_e32 v14, vcc, s18, v26
	v_addc_co_u32_e32 v15, vcc, v27, v0, vcc
	global_store_dwordx2 v[14:15], v[18:19], off
	buffer_wbl2
	s_waitcnt vmcnt(0)
	global_atomic_cmpswap_x2 v[2:3], v31, v[16:19], s[12:13] offset:32 glc
	s_waitcnt vmcnt(0)
	v_cmp_ne_u64_e32 vcc, v[2:3], v[18:19]
	s_and_saveexec_b64 s[18:19], vcc
	s_cbranch_execz .LBB2_71
; %bb.69:                               ;   in Loop: Header=BB2_3 Depth=1
	s_mov_b64 s[20:21], 0
.LBB2_70:                               ;   Parent Loop BB2_3 Depth=1
                                        ; =>  This Inner Loop Header: Depth=2
	s_sleep 1
	global_store_dwordx2 v[14:15], v[2:3], off
	v_mov_b32_e32 v0, s14
	v_mov_b32_e32 v1, s15
	buffer_wbl2
	s_waitcnt vmcnt(0)
	global_atomic_cmpswap_x2 v[0:1], v31, v[0:3], s[12:13] offset:32 glc
	s_waitcnt vmcnt(0)
	v_cmp_eq_u64_e32 vcc, v[0:1], v[2:3]
	s_or_b64 s[20:21], vcc, s[20:21]
	v_pk_mov_b32 v[2:3], v[0:1], v[0:1] op_sel:[0,1]
	s_andn2_b64 exec, exec, s[20:21]
	s_cbranch_execnz .LBB2_70
.LBB2_71:                               ;   in Loop: Header=BB2_3 Depth=1
	s_or_b64 exec, exec, s[18:19]
	global_load_dwordx2 v[0:1], v31, s[12:13] offset:16
	s_mov_b64 s[20:21], exec
	v_mbcnt_lo_u32_b32 v2, s20, 0
	v_mbcnt_hi_u32_b32 v2, s21, v2
	v_cmp_eq_u32_e32 vcc, 0, v2
	s_and_saveexec_b64 s[18:19], vcc
	s_cbranch_execz .LBB2_73
; %bb.72:                               ;   in Loop: Header=BB2_3 Depth=1
	s_bcnt1_i32_b64 s20, s[20:21]
	v_mov_b32_e32 v30, s20
	buffer_wbl2
	s_waitcnt vmcnt(0)
	global_atomic_add_x2 v[0:1], v[30:31], off offset:8
.LBB2_73:                               ;   in Loop: Header=BB2_3 Depth=1
	s_or_b64 exec, exec, s[18:19]
	s_waitcnt vmcnt(0)
	global_load_dwordx2 v[2:3], v[0:1], off offset:16
	s_waitcnt vmcnt(0)
	v_cmp_eq_u64_e32 vcc, 0, v[2:3]
	s_cbranch_vccnz .LBB2_75
; %bb.74:                               ;   in Loop: Header=BB2_3 Depth=1
	global_load_dword v30, v[0:1], off offset:24
	s_waitcnt vmcnt(0)
	v_and_b32_e32 v0, 0xffffff, v30
	v_readfirstlane_b32 m0, v0
	buffer_wbl2
	global_store_dwordx2 v[2:3], v[30:31], off
	s_sendmsg sendmsg(MSG_INTERRUPT)
.LBB2_75:                               ;   in Loop: Header=BB2_3 Depth=1
	s_or_b64 exec, exec, s[16:17]
	v_add_co_u32_e32 v0, vcc, v10, v11
	v_addc_co_u32_e32 v1, vcc, 0, v7, vcc
	s_branch .LBB2_79
.LBB2_76:                               ;   in Loop: Header=BB2_79 Depth=2
	s_or_b64 exec, exec, s[16:17]
	v_readfirstlane_b32 s16, v2
	s_cmp_eq_u32 s16, 0
	s_cbranch_scc1 .LBB2_78
; %bb.77:                               ;   in Loop: Header=BB2_79 Depth=2
	s_sleep 1
	s_cbranch_execnz .LBB2_79
	s_branch .LBB2_81
.LBB2_78:                               ;   in Loop: Header=BB2_3 Depth=1
	s_branch .LBB2_81
.LBB2_79:                               ;   Parent Loop BB2_3 Depth=1
                                        ; =>  This Inner Loop Header: Depth=2
	v_mov_b32_e32 v2, 1
	s_and_saveexec_b64 s[16:17], s[4:5]
	s_cbranch_execz .LBB2_76
; %bb.80:                               ;   in Loop: Header=BB2_79 Depth=2
	global_load_dword v2, v[36:37], off offset:20 glc
	s_waitcnt vmcnt(0)
	buffer_invl2
	buffer_wbinvl1_vol
	v_and_b32_e32 v2, 1, v2
	s_branch .LBB2_76
.LBB2_81:                               ;   in Loop: Header=BB2_3 Depth=1
	global_load_dwordx4 v[0:3], v[0:1], off
	s_and_saveexec_b64 s[16:17], s[4:5]
	s_cbranch_execz .LBB2_2
; %bb.82:                               ;   in Loop: Header=BB2_3 Depth=1
	global_load_dwordx2 v[2:3], v31, s[12:13] offset:40
	global_load_dwordx2 v[10:11], v31, s[12:13] offset:24 glc
	global_load_dwordx2 v[18:19], v31, s[12:13]
	v_mov_b32_e32 v7, s15
	s_waitcnt vmcnt(2)
	v_add_co_u32_e32 v17, vcc, 1, v2
	v_addc_co_u32_e32 v20, vcc, 0, v3, vcc
	v_add_co_u32_e32 v14, vcc, s14, v17
	v_addc_co_u32_e32 v15, vcc, v20, v7, vcc
	v_cmp_eq_u64_e32 vcc, 0, v[14:15]
	v_cndmask_b32_e32 v15, v15, v20, vcc
	v_cndmask_b32_e32 v14, v14, v17, vcc
	v_and_b32_e32 v3, v15, v3
	v_and_b32_e32 v2, v14, v2
	v_mul_lo_u32 v3, v3, 24
	v_mul_hi_u32 v7, v2, 24
	v_mul_lo_u32 v2, v2, 24
	v_add_u32_e32 v3, v7, v3
	s_waitcnt vmcnt(0)
	v_add_co_u32_e32 v2, vcc, v18, v2
	v_addc_co_u32_e32 v3, vcc, v19, v3, vcc
	v_mov_b32_e32 v16, v10
	global_store_dwordx2 v[2:3], v[10:11], off
	v_mov_b32_e32 v17, v11
	buffer_wbl2
	s_waitcnt vmcnt(0)
	global_atomic_cmpswap_x2 v[16:17], v31, v[14:17], s[12:13] offset:24 glc
	s_waitcnt vmcnt(0)
	v_cmp_ne_u64_e32 vcc, v[16:17], v[10:11]
	s_and_b64 exec, exec, vcc
	s_cbranch_execz .LBB2_2
; %bb.83:                               ;   in Loop: Header=BB2_3 Depth=1
	s_mov_b64 s[4:5], 0
.LBB2_84:                               ;   Parent Loop BB2_3 Depth=1
                                        ; =>  This Inner Loop Header: Depth=2
	s_sleep 1
	global_store_dwordx2 v[2:3], v[16:17], off
	buffer_wbl2
	s_waitcnt vmcnt(0)
	global_atomic_cmpswap_x2 v[10:11], v31, v[14:17], s[12:13] offset:24 glc
	s_waitcnt vmcnt(0)
	v_cmp_eq_u64_e32 vcc, v[10:11], v[16:17]
	s_or_b64 s[4:5], vcc, s[4:5]
	v_pk_mov_b32 v[16:17], v[10:11], v[10:11] op_sel:[0,1]
	s_andn2_b64 exec, exec, s[4:5]
	s_cbranch_execnz .LBB2_84
	s_branch .LBB2_2
.LBB2_85:
	s_or_b64 exec, exec, s[6:7]
                                        ; implicit-def: $vgpr0
                                        ; implicit-def: $vgpr1
                                        ; implicit-def: $vgpr2
.LBB2_86:
	s_andn2_saveexec_b64 s[6:7], s[10:11]
	s_cbranch_execz .LBB2_109
; %bb.87:
	s_load_dwordx2 s[8:9], s[8:9], 0x50
	s_waitcnt vmcnt(0)
	v_mbcnt_hi_u32_b32 v3, -1, v2
	v_readfirstlane_b32 s4, v3
	v_cmp_eq_u32_e64 s[4:5], s4, v3
	v_pk_mov_b32 v[8:9], 0, 0
	s_and_saveexec_b64 s[10:11], s[4:5]
	s_cbranch_execz .LBB2_93
; %bb.88:
	v_mov_b32_e32 v2, 0
	s_waitcnt lgkmcnt(0)
	global_load_dwordx2 v[6:7], v2, s[8:9] offset:24 glc
	s_waitcnt vmcnt(0)
	buffer_invl2
	buffer_wbinvl1_vol
	global_load_dwordx2 v[4:5], v2, s[8:9] offset:40
	global_load_dwordx2 v[8:9], v2, s[8:9]
	s_waitcnt vmcnt(1)
	v_and_b32_e32 v4, v4, v6
	v_and_b32_e32 v5, v5, v7
	v_mul_lo_u32 v5, v5, 24
	v_mul_hi_u32 v10, v4, 24
	v_mul_lo_u32 v4, v4, 24
	v_add_u32_e32 v5, v10, v5
	s_waitcnt vmcnt(0)
	v_add_co_u32_e32 v4, vcc, v8, v4
	v_addc_co_u32_e32 v5, vcc, v9, v5, vcc
	global_load_dwordx2 v[4:5], v[4:5], off glc
	s_waitcnt vmcnt(0)
	global_atomic_cmpswap_x2 v[8:9], v2, v[4:7], s[8:9] offset:24 glc
	s_waitcnt vmcnt(0)
	buffer_invl2
	buffer_wbinvl1_vol
	v_cmp_ne_u64_e32 vcc, v[8:9], v[6:7]
	s_and_saveexec_b64 s[12:13], vcc
	s_cbranch_execz .LBB2_92
; %bb.89:
	s_mov_b64 s[14:15], 0
.LBB2_90:                               ; =>This Inner Loop Header: Depth=1
	s_sleep 1
	global_load_dwordx2 v[4:5], v2, s[8:9] offset:40
	global_load_dwordx2 v[10:11], v2, s[8:9]
	v_pk_mov_b32 v[6:7], v[8:9], v[8:9] op_sel:[0,1]
	s_waitcnt vmcnt(1)
	v_and_b32_e32 v4, v4, v6
	v_and_b32_e32 v9, v5, v7
	s_waitcnt vmcnt(0)
	v_mad_u64_u32 v[4:5], s[16:17], v4, 24, v[10:11]
	v_mov_b32_e32 v8, v5
	v_mad_u64_u32 v[8:9], s[16:17], v9, 24, v[8:9]
	v_mov_b32_e32 v5, v8
	global_load_dwordx2 v[4:5], v[4:5], off glc
	s_waitcnt vmcnt(0)
	global_atomic_cmpswap_x2 v[8:9], v2, v[4:7], s[8:9] offset:24 glc
	s_waitcnt vmcnt(0)
	buffer_invl2
	buffer_wbinvl1_vol
	v_cmp_eq_u64_e32 vcc, v[8:9], v[6:7]
	s_or_b64 s[14:15], vcc, s[14:15]
	s_andn2_b64 exec, exec, s[14:15]
	s_cbranch_execnz .LBB2_90
; %bb.91:
	s_or_b64 exec, exec, s[14:15]
.LBB2_92:
	s_or_b64 exec, exec, s[12:13]
.LBB2_93:
	s_or_b64 exec, exec, s[10:11]
	v_mov_b32_e32 v2, 0
	s_waitcnt lgkmcnt(0)
	global_load_dwordx2 v[10:11], v2, s[8:9] offset:40
	global_load_dwordx4 v[4:7], v2, s[8:9]
	v_readfirstlane_b32 s10, v8
	v_readfirstlane_b32 s11, v9
	s_mov_b64 s[12:13], exec
	s_waitcnt vmcnt(1)
	v_readfirstlane_b32 s14, v10
	v_readfirstlane_b32 s15, v11
	s_and_b64 s[14:15], s[10:11], s[14:15]
	s_mul_i32 s16, s15, 24
	s_mul_hi_u32 s17, s14, 24
	s_mul_i32 s18, s14, 24
	s_add_i32 s16, s17, s16
	v_mov_b32_e32 v9, s16
	s_waitcnt vmcnt(0)
	v_add_co_u32_e32 v8, vcc, s18, v4
	v_addc_co_u32_e32 v9, vcc, v5, v9, vcc
	s_and_saveexec_b64 s[16:17], s[4:5]
	s_cbranch_execz .LBB2_95
; %bb.94:
	v_pk_mov_b32 v[10:11], s[12:13], s[12:13] op_sel:[0,1]
	v_mov_b32_e32 v12, 2
	v_mov_b32_e32 v13, 1
	global_store_dwordx4 v[8:9], v[10:13], off offset:8
.LBB2_95:
	s_or_b64 exec, exec, s[16:17]
	s_lshl_b64 s[12:13], s[14:15], 12
	v_mov_b32_e32 v10, s13
	v_add_co_u32_e32 v6, vcc, s12, v6
	s_movk_i32 s12, 0xff1f
	v_addc_co_u32_e32 v7, vcc, v7, v10, vcc
	v_and_or_b32 v0, v0, s12, 32
	s_mov_b32 s12, 0
	v_lshlrev_b32_e32 v10, 6, v3
	v_mov_b32_e32 v3, v2
	v_readfirstlane_b32 s16, v6
	v_readfirstlane_b32 s17, v7
	s_mov_b32 s13, s12
	s_mov_b32 s14, s12
	s_mov_b32 s15, s12
	s_nop 1
	global_store_dwordx4 v10, v[0:3], s[16:17]
	s_nop 0
	v_pk_mov_b32 v[0:1], s[12:13], s[12:13] op_sel:[0,1]
	v_pk_mov_b32 v[2:3], s[14:15], s[14:15] op_sel:[0,1]
	global_store_dwordx4 v10, v[0:3], s[16:17] offset:16
	global_store_dwordx4 v10, v[0:3], s[16:17] offset:32
	global_store_dwordx4 v10, v[0:3], s[16:17] offset:48
	s_and_saveexec_b64 s[12:13], s[4:5]
	s_cbranch_execz .LBB2_103
; %bb.96:
	v_mov_b32_e32 v6, 0
	global_load_dwordx2 v[12:13], v6, s[8:9] offset:32 glc
	global_load_dwordx2 v[0:1], v6, s[8:9] offset:40
	v_mov_b32_e32 v10, s10
	v_mov_b32_e32 v11, s11
	s_waitcnt vmcnt(0)
	v_and_b32_e32 v0, s10, v0
	v_and_b32_e32 v1, s11, v1
	v_mul_lo_u32 v1, v1, 24
	v_mul_hi_u32 v2, v0, 24
	v_mul_lo_u32 v0, v0, 24
	v_add_u32_e32 v1, v2, v1
	v_add_co_u32_e32 v4, vcc, v4, v0
	v_addc_co_u32_e32 v5, vcc, v5, v1, vcc
	global_store_dwordx2 v[4:5], v[12:13], off
	buffer_wbl2
	s_waitcnt vmcnt(0)
	global_atomic_cmpswap_x2 v[2:3], v6, v[10:13], s[8:9] offset:32 glc
	s_waitcnt vmcnt(0)
	v_cmp_ne_u64_e32 vcc, v[2:3], v[12:13]
	s_and_saveexec_b64 s[14:15], vcc
	s_cbranch_execz .LBB2_99
; %bb.97:
	s_mov_b64 s[16:17], 0
.LBB2_98:                               ; =>This Inner Loop Header: Depth=1
	s_sleep 1
	global_store_dwordx2 v[4:5], v[2:3], off
	v_mov_b32_e32 v0, s10
	v_mov_b32_e32 v1, s11
	buffer_wbl2
	s_waitcnt vmcnt(0)
	global_atomic_cmpswap_x2 v[0:1], v6, v[0:3], s[8:9] offset:32 glc
	s_waitcnt vmcnt(0)
	v_cmp_eq_u64_e32 vcc, v[0:1], v[2:3]
	s_or_b64 s[16:17], vcc, s[16:17]
	v_pk_mov_b32 v[2:3], v[0:1], v[0:1] op_sel:[0,1]
	s_andn2_b64 exec, exec, s[16:17]
	s_cbranch_execnz .LBB2_98
.LBB2_99:
	s_or_b64 exec, exec, s[14:15]
	v_mov_b32_e32 v3, 0
	global_load_dwordx2 v[0:1], v3, s[8:9] offset:16
	s_mov_b64 s[14:15], exec
	v_mbcnt_lo_u32_b32 v2, s14, 0
	v_mbcnt_hi_u32_b32 v2, s15, v2
	v_cmp_eq_u32_e32 vcc, 0, v2
	s_and_saveexec_b64 s[16:17], vcc
	s_cbranch_execz .LBB2_101
; %bb.100:
	s_bcnt1_i32_b64 s14, s[14:15]
	v_mov_b32_e32 v2, s14
	buffer_wbl2
	s_waitcnt vmcnt(0)
	global_atomic_add_x2 v[0:1], v[2:3], off offset:8
.LBB2_101:
	s_or_b64 exec, exec, s[16:17]
	s_waitcnt vmcnt(0)
	global_load_dwordx2 v[2:3], v[0:1], off offset:16
	s_waitcnt vmcnt(0)
	v_cmp_eq_u64_e32 vcc, 0, v[2:3]
	s_cbranch_vccnz .LBB2_103
; %bb.102:
	global_load_dword v0, v[0:1], off offset:24
	v_mov_b32_e32 v1, 0
	buffer_wbl2
	s_waitcnt vmcnt(0)
	global_store_dwordx2 v[2:3], v[0:1], off
	v_and_b32_e32 v0, 0xffffff, v0
	v_readfirstlane_b32 m0, v0
	s_sendmsg sendmsg(MSG_INTERRUPT)
.LBB2_103:
	s_or_b64 exec, exec, s[12:13]
	s_branch .LBB2_107
.LBB2_104:                              ;   in Loop: Header=BB2_107 Depth=1
	s_or_b64 exec, exec, s[12:13]
	v_readfirstlane_b32 s12, v0
	s_cmp_eq_u32 s12, 0
	s_cbranch_scc1 .LBB2_106
; %bb.105:                              ;   in Loop: Header=BB2_107 Depth=1
	s_sleep 1
	s_cbranch_execnz .LBB2_107
	s_branch .LBB2_110
.LBB2_106:
	s_branch .LBB2_110
.LBB2_107:                              ; =>This Inner Loop Header: Depth=1
	v_mov_b32_e32 v0, 1
	s_and_saveexec_b64 s[12:13], s[4:5]
	s_cbranch_execz .LBB2_104
; %bb.108:                              ;   in Loop: Header=BB2_107 Depth=1
	global_load_dword v0, v[8:9], off offset:20 glc
	s_waitcnt vmcnt(0)
	buffer_invl2
	buffer_wbinvl1_vol
	v_and_b32_e32 v0, 1, v0
	s_branch .LBB2_104
.LBB2_109:
	s_or_b64 exec, exec, s[6:7]
	s_waitcnt vmcnt(0) lgkmcnt(0)
	s_setpc_b64 s[30:31]
.LBB2_110:
	s_and_saveexec_b64 s[12:13], s[4:5]
	s_cbranch_execz .LBB2_113
; %bb.111:
	v_mov_b32_e32 v6, 0
	global_load_dwordx2 v[4:5], v6, s[8:9] offset:40
	global_load_dwordx2 v[8:9], v6, s[8:9] offset:24 glc
	global_load_dwordx2 v[10:11], v6, s[8:9]
	v_mov_b32_e32 v1, s11
	s_mov_b64 s[4:5], 0
	s_waitcnt vmcnt(2)
	v_add_co_u32_e32 v3, vcc, 1, v4
	v_addc_co_u32_e32 v7, vcc, 0, v5, vcc
	v_add_co_u32_e32 v0, vcc, s10, v3
	v_addc_co_u32_e32 v1, vcc, v7, v1, vcc
	v_cmp_eq_u64_e32 vcc, 0, v[0:1]
	v_cndmask_b32_e32 v1, v1, v7, vcc
	v_cndmask_b32_e32 v0, v0, v3, vcc
	v_and_b32_e32 v3, v1, v5
	v_and_b32_e32 v4, v0, v4
	v_mul_lo_u32 v3, v3, 24
	v_mul_hi_u32 v5, v4, 24
	v_mul_lo_u32 v4, v4, 24
	v_add_u32_e32 v3, v5, v3
	s_waitcnt vmcnt(0)
	v_add_co_u32_e32 v4, vcc, v10, v4
	v_addc_co_u32_e32 v5, vcc, v11, v3, vcc
	v_mov_b32_e32 v2, v8
	global_store_dwordx2 v[4:5], v[8:9], off
	v_mov_b32_e32 v3, v9
	buffer_wbl2
	s_waitcnt vmcnt(0)
	global_atomic_cmpswap_x2 v[2:3], v6, v[0:3], s[8:9] offset:24 glc
	s_waitcnt vmcnt(0)
	v_cmp_ne_u64_e32 vcc, v[2:3], v[8:9]
	s_and_b64 exec, exec, vcc
	s_cbranch_execz .LBB2_113
.LBB2_112:                              ; =>This Inner Loop Header: Depth=1
	s_sleep 1
	global_store_dwordx2 v[4:5], v[2:3], off
	buffer_wbl2
	s_waitcnt vmcnt(0)
	global_atomic_cmpswap_x2 v[8:9], v6, v[0:3], s[8:9] offset:24 glc
	s_waitcnt vmcnt(0)
	v_cmp_eq_u64_e32 vcc, v[8:9], v[2:3]
	s_or_b64 s[4:5], vcc, s[4:5]
	v_pk_mov_b32 v[2:3], v[8:9], v[8:9] op_sel:[0,1]
	s_andn2_b64 exec, exec, s[4:5]
	s_cbranch_execnz .LBB2_112
.LBB2_113:
	s_or_b64 exec, exec, s[12:13]
	s_or_b64 exec, exec, s[6:7]
	s_waitcnt vmcnt(0) lgkmcnt(0)
	s_setpc_b64 s[30:31]
.Lfunc_end2:
	.size	__ockl_fprintf_append_string_n, .Lfunc_end2-__ockl_fprintf_append_string_n
                                        ; -- End function
	.section	.AMDGPU.csdata,"",@progbits
; Function info:
; codeLenInByte = 4372
; NumSgprs: 36
; NumVgprs: 38
; NumAgprs: 0
; TotalNumVgprs: 38
; ScratchSize: 0
; MemoryBound: 0
	.text
	.p2align	2                               ; -- Begin function __assert_fail
	.type	__assert_fail,@function
__assert_fail:                          ; @__assert_fail
; %bb.0:
	s_waitcnt vmcnt(0) expcnt(0) lgkmcnt(0)
	s_mov_b32 s25, s33
	s_mov_b32 s33, s32
	s_or_saveexec_b64 s[4:5], -1
	buffer_store_dword v40, off, s[0:3], s33 offset:48 ; 4-byte Folded Spill
	s_mov_b64 exec, s[4:5]
	v_writelane_b32 v40, s30, 0
	s_addk_i32 s32, 0x1000
	v_writelane_b32 v40, s31, 1
	s_getpc_b64 s[4:5]
	s_add_u32 s4, s4, __const.__assert_fail.fmt@rel32@lo+4
	s_addc_u32 s5, s5, __const.__assert_fail.fmt@rel32@hi+12
	s_load_dwordx4 s[4:7], s[4:5], 0x0
	v_mov_b32_e32 v4, v0
	v_mov_b32_e32 v0, 0xa2e
	buffer_store_short v0, off, s[0:3], s33 offset:44
	v_mov_b32_e32 v0, 0x64656c69
	buffer_store_dword v0, off, s[0:3], s33 offset:40
	v_mov_b32_e32 v0, 0x61662027
	s_getpc_b64 s[10:11]
	s_add_u32 s10, s10, __const.__assert_fail.fmt@rel32@lo+20
	s_addc_u32 s11, s11, __const.__assert_fail.fmt@rel32@hi+28
	buffer_store_dword v0, off, s[0:3], s33 offset:36
	v_mov_b32_e32 v0, 0x73256020
	s_load_dwordx4 s[12:15], s[10:11], 0x0
	buffer_store_dword v0, off, s[0:3], s33 offset:32
	s_waitcnt lgkmcnt(0)
	v_mov_b32_e32 v0, s7
	buffer_store_dword v0, off, s[0:3], s33 offset:12
	v_mov_b32_e32 v0, s6
	buffer_store_dword v0, off, s[0:3], s33 offset:8
	;; [unrolled: 2-line block ×3, first 2 shown]
	v_mov_b32_e32 v0, s4
	buffer_store_dword v0, off, s[0:3], s33
	v_mov_b32_e32 v0, s15
	buffer_store_dword v0, off, s[0:3], s33 offset:28
	v_mov_b32_e32 v0, s14
	buffer_store_dword v0, off, s[0:3], s33 offset:24
	;; [unrolled: 2-line block ×3, first 2 shown]
	v_mov_b32_e32 v0, s12
	s_load_dwordx2 s[10:11], s[8:9], 0x50
	buffer_store_dword v0, off, s[0:3], s33 offset:16
	v_mbcnt_lo_u32_b32 v0, -1, 0
	v_mbcnt_hi_u32_b32 v37, -1, v0
	v_readfirstlane_b32 s4, v37
	v_mov_b32_e32 v5, v1
	v_mov_b32_e32 v8, 0
	v_cmp_eq_u32_e64 s[4:5], s4, v37
	v_pk_mov_b32 v[6:7], 0, 0
	buffer_store_byte v8, off, s[0:3], s33 offset:46
	s_and_saveexec_b64 s[6:7], s[4:5]
	s_cbranch_execz .LBB3_6
; %bb.1:
	s_waitcnt lgkmcnt(0)
	global_load_dwordx2 v[2:3], v8, s[10:11] offset:24 glc
	s_waitcnt vmcnt(0)
	buffer_invl2
	buffer_wbinvl1_vol
	global_load_dwordx2 v[0:1], v8, s[10:11] offset:40
	global_load_dwordx2 v[6:7], v8, s[10:11]
	s_waitcnt vmcnt(1)
	v_and_b32_e32 v0, v0, v2
	v_and_b32_e32 v1, v1, v3
	v_mul_lo_u32 v1, v1, 24
	v_mul_hi_u32 v9, v0, 24
	v_mul_lo_u32 v0, v0, 24
	v_add_u32_e32 v1, v9, v1
	s_waitcnt vmcnt(0)
	v_add_co_u32_e32 v0, vcc, v6, v0
	v_addc_co_u32_e32 v1, vcc, v7, v1, vcc
	global_load_dwordx2 v[0:1], v[0:1], off glc
	s_waitcnt vmcnt(0)
	global_atomic_cmpswap_x2 v[6:7], v8, v[0:3], s[10:11] offset:24 glc
	s_waitcnt vmcnt(0)
	buffer_invl2
	buffer_wbinvl1_vol
	v_cmp_ne_u64_e32 vcc, v[6:7], v[2:3]
	s_and_saveexec_b64 s[12:13], vcc
	s_cbranch_execz .LBB3_5
; %bb.2:
	s_mov_b64 s[14:15], 0
.LBB3_3:                                ; =>This Inner Loop Header: Depth=1
	s_sleep 1
	global_load_dwordx2 v[0:1], v8, s[10:11] offset:40
	global_load_dwordx2 v[10:11], v8, s[10:11]
	v_pk_mov_b32 v[2:3], v[6:7], v[6:7] op_sel:[0,1]
	s_waitcnt vmcnt(1)
	v_and_b32_e32 v0, v0, v2
	v_and_b32_e32 v7, v1, v3
	s_waitcnt vmcnt(0)
	v_mad_u64_u32 v[0:1], s[16:17], v0, 24, v[10:11]
	v_mov_b32_e32 v6, v1
	v_mad_u64_u32 v[6:7], s[16:17], v7, 24, v[6:7]
	v_mov_b32_e32 v1, v6
	global_load_dwordx2 v[0:1], v[0:1], off glc
	s_waitcnt vmcnt(0)
	global_atomic_cmpswap_x2 v[6:7], v8, v[0:3], s[10:11] offset:24 glc
	s_waitcnt vmcnt(0)
	buffer_invl2
	buffer_wbinvl1_vol
	v_cmp_eq_u64_e32 vcc, v[6:7], v[2:3]
	s_or_b64 s[14:15], vcc, s[14:15]
	s_andn2_b64 exec, exec, s[14:15]
	s_cbranch_execnz .LBB3_3
; %bb.4:
	s_or_b64 exec, exec, s[14:15]
.LBB3_5:
	s_or_b64 exec, exec, s[12:13]
.LBB3_6:
	s_or_b64 exec, exec, s[6:7]
	s_waitcnt lgkmcnt(0)
	global_load_dwordx2 v[10:11], v8, s[10:11] offset:40
	global_load_dwordx4 v[0:3], v8, s[10:11]
	v_readfirstlane_b32 s6, v6
	v_readfirstlane_b32 s7, v7
	s_mov_b64 s[12:13], exec
	s_waitcnt vmcnt(1)
	v_readfirstlane_b32 s14, v10
	v_readfirstlane_b32 s15, v11
	s_and_b64 s[14:15], s[6:7], s[14:15]
	s_mul_i32 s16, s15, 24
	s_mul_hi_u32 s17, s14, 24
	s_mul_i32 s18, s14, 24
	s_add_i32 s16, s17, s16
	v_mov_b32_e32 v6, s16
	s_waitcnt vmcnt(0)
	v_add_co_u32_e32 v10, vcc, s18, v0
	v_addc_co_u32_e32 v11, vcc, v1, v6, vcc
	s_and_saveexec_b64 s[16:17], s[4:5]
	s_cbranch_execz .LBB3_8
; %bb.7:
	v_pk_mov_b32 v[6:7], s[12:13], s[12:13] op_sel:[0,1]
	v_mov_b32_e32 v8, 2
	v_mov_b32_e32 v9, 1
	global_store_dwordx4 v[10:11], v[6:9], off offset:8
.LBB3_8:
	s_or_b64 exec, exec, s[16:17]
	s_lshl_b64 s[12:13], s[14:15], 12
	v_mov_b32_e32 v6, s13
	v_add_co_u32_e32 v2, vcc, s12, v2
	s_mov_b32 s12, 0
	v_addc_co_u32_e32 v3, vcc, v3, v6, vcc
	v_lshlrev_b32_e32 v36, 6, v37
	s_mov_b32 s14, s12
	s_mov_b32 s15, s12
	v_mov_b32_e32 v7, 0
	v_add_co_u32_e32 v12, vcc, v2, v36
	s_mov_b32 s13, s12
	v_pk_mov_b32 v[16:17], s[14:15], s[14:15] op_sel:[0,1]
	v_addc_co_u32_e32 v13, vcc, 0, v3, vcc
	v_mov_b32_e32 v6, 33
	v_mov_b32_e32 v8, 1
	v_mov_b32_e32 v9, v7
	v_readfirstlane_b32 s16, v2
	v_readfirstlane_b32 s17, v3
	v_pk_mov_b32 v[14:15], s[12:13], s[12:13] op_sel:[0,1]
	s_nop 3
	global_store_dwordx4 v36, v[6:9], s[16:17]
	global_store_dwordx4 v36, v[14:17], s[16:17] offset:16
	global_store_dwordx4 v36, v[14:17], s[16:17] offset:32
	;; [unrolled: 1-line block ×3, first 2 shown]
	s_and_saveexec_b64 s[12:13], s[4:5]
	s_cbranch_execz .LBB3_16
; %bb.9:
	global_load_dwordx2 v[16:17], v7, s[10:11] offset:32 glc
	global_load_dwordx2 v[2:3], v7, s[10:11] offset:40
	v_mov_b32_e32 v14, s6
	v_mov_b32_e32 v15, s7
	s_waitcnt vmcnt(0)
	v_and_b32_e32 v2, s6, v2
	v_and_b32_e32 v3, s7, v3
	v_mul_lo_u32 v3, v3, 24
	v_mul_hi_u32 v6, v2, 24
	v_mul_lo_u32 v2, v2, 24
	v_add_u32_e32 v3, v6, v3
	v_add_co_u32_e32 v8, vcc, v0, v2
	v_addc_co_u32_e32 v9, vcc, v1, v3, vcc
	global_store_dwordx2 v[8:9], v[16:17], off
	buffer_wbl2
	s_waitcnt vmcnt(0)
	global_atomic_cmpswap_x2 v[2:3], v7, v[14:17], s[10:11] offset:32 glc
	s_waitcnt vmcnt(0)
	v_cmp_ne_u64_e32 vcc, v[2:3], v[16:17]
	s_and_saveexec_b64 s[14:15], vcc
	s_cbranch_execz .LBB3_12
; %bb.10:
	s_mov_b64 s[16:17], 0
.LBB3_11:                               ; =>This Inner Loop Header: Depth=1
	s_sleep 1
	global_store_dwordx2 v[8:9], v[2:3], off
	v_mov_b32_e32 v0, s6
	v_mov_b32_e32 v1, s7
	buffer_wbl2
	s_waitcnt vmcnt(0)
	global_atomic_cmpswap_x2 v[0:1], v7, v[0:3], s[10:11] offset:32 glc
	s_waitcnt vmcnt(0)
	v_cmp_eq_u64_e32 vcc, v[0:1], v[2:3]
	s_or_b64 s[16:17], vcc, s[16:17]
	v_pk_mov_b32 v[2:3], v[0:1], v[0:1] op_sel:[0,1]
	s_andn2_b64 exec, exec, s[16:17]
	s_cbranch_execnz .LBB3_11
.LBB3_12:
	s_or_b64 exec, exec, s[14:15]
	v_mov_b32_e32 v3, 0
	global_load_dwordx2 v[0:1], v3, s[10:11] offset:16
	s_mov_b64 s[14:15], exec
	v_mbcnt_lo_u32_b32 v2, s14, 0
	v_mbcnt_hi_u32_b32 v2, s15, v2
	v_cmp_eq_u32_e32 vcc, 0, v2
	s_and_saveexec_b64 s[16:17], vcc
	s_cbranch_execz .LBB3_14
; %bb.13:
	s_bcnt1_i32_b64 s14, s[14:15]
	v_mov_b32_e32 v2, s14
	buffer_wbl2
	s_waitcnt vmcnt(0)
	global_atomic_add_x2 v[0:1], v[2:3], off offset:8
.LBB3_14:
	s_or_b64 exec, exec, s[16:17]
	s_waitcnt vmcnt(0)
	global_load_dwordx2 v[2:3], v[0:1], off offset:16
	s_waitcnt vmcnt(0)
	v_cmp_eq_u64_e32 vcc, 0, v[2:3]
	s_cbranch_vccnz .LBB3_16
; %bb.15:
	global_load_dword v0, v[0:1], off offset:24
	v_mov_b32_e32 v1, 0
	buffer_wbl2
	s_waitcnt vmcnt(0)
	global_store_dwordx2 v[2:3], v[0:1], off
	v_and_b32_e32 v0, 0xffffff, v0
	v_readfirstlane_b32 m0, v0
	s_sendmsg sendmsg(MSG_INTERRUPT)
.LBB3_16:
	s_or_b64 exec, exec, s[12:13]
	s_branch .LBB3_20
.LBB3_17:                               ;   in Loop: Header=BB3_20 Depth=1
	s_or_b64 exec, exec, s[12:13]
	v_readfirstlane_b32 s12, v0
	s_cmp_eq_u32 s12, 0
	s_cbranch_scc1 .LBB3_19
; %bb.18:                               ;   in Loop: Header=BB3_20 Depth=1
	s_sleep 1
	s_cbranch_execnz .LBB3_20
	s_branch .LBB3_22
.LBB3_19:
	s_branch .LBB3_22
.LBB3_20:                               ; =>This Inner Loop Header: Depth=1
	v_mov_b32_e32 v0, 1
	s_and_saveexec_b64 s[12:13], s[4:5]
	s_cbranch_execz .LBB3_17
; %bb.21:                               ;   in Loop: Header=BB3_20 Depth=1
	global_load_dword v0, v[10:11], off offset:20 glc
	s_waitcnt vmcnt(0)
	buffer_invl2
	buffer_wbinvl1_vol
	v_and_b32_e32 v0, 1, v0
	s_branch .LBB3_17
.LBB3_22:
	global_load_dwordx2 v[6:7], v[12:13], off
	s_and_saveexec_b64 s[12:13], s[4:5]
	s_cbranch_execz .LBB3_25
; %bb.23:
	v_mov_b32_e32 v10, 0
	global_load_dwordx2 v[8:9], v10, s[10:11] offset:40
	global_load_dwordx2 v[12:13], v10, s[10:11] offset:24 glc
	global_load_dwordx2 v[14:15], v10, s[10:11]
	v_mov_b32_e32 v1, s7
	s_mov_b64 s[4:5], 0
	s_waitcnt vmcnt(2)
	v_add_co_u32_e32 v3, vcc, 1, v8
	v_addc_co_u32_e32 v11, vcc, 0, v9, vcc
	v_add_co_u32_e32 v0, vcc, s6, v3
	v_addc_co_u32_e32 v1, vcc, v11, v1, vcc
	v_cmp_eq_u64_e32 vcc, 0, v[0:1]
	v_cndmask_b32_e32 v1, v1, v11, vcc
	v_cndmask_b32_e32 v0, v0, v3, vcc
	v_and_b32_e32 v3, v1, v9
	v_and_b32_e32 v8, v0, v8
	v_mul_lo_u32 v3, v3, 24
	v_mul_hi_u32 v9, v8, 24
	v_mul_lo_u32 v8, v8, 24
	v_add_u32_e32 v3, v9, v3
	s_waitcnt vmcnt(0)
	v_add_co_u32_e32 v8, vcc, v14, v8
	v_addc_co_u32_e32 v9, vcc, v15, v3, vcc
	v_mov_b32_e32 v2, v12
	global_store_dwordx2 v[8:9], v[12:13], off
	v_mov_b32_e32 v3, v13
	buffer_wbl2
	s_waitcnt vmcnt(0)
	global_atomic_cmpswap_x2 v[2:3], v10, v[0:3], s[10:11] offset:24 glc
	s_waitcnt vmcnt(0)
	v_cmp_ne_u64_e32 vcc, v[2:3], v[12:13]
	s_and_b64 exec, exec, vcc
	s_cbranch_execz .LBB3_25
.LBB3_24:                               ; =>This Inner Loop Header: Depth=1
	s_sleep 1
	global_store_dwordx2 v[8:9], v[2:3], off
	buffer_wbl2
	s_waitcnt vmcnt(0)
	global_atomic_cmpswap_x2 v[12:13], v10, v[0:3], s[10:11] offset:24 glc
	s_waitcnt vmcnt(0)
	v_cmp_eq_u64_e32 vcc, v[12:13], v[2:3]
	s_or_b64 s[4:5], vcc, s[4:5]
	v_pk_mov_b32 v[2:3], v[12:13], v[12:13] op_sel:[0,1]
	s_andn2_b64 exec, exec, s[4:5]
	s_cbranch_execnz .LBB3_24
.LBB3_25:
	s_or_b64 exec, exec, s[12:13]
	v_lshrrev_b32_e64 v1, 6, s33
	s_mov_b64 s[4:5], 0
.LBB3_26:                               ; =>This Inner Loop Header: Depth=1
	buffer_load_ubyte v2, v1, s[0:3], 0 offen
	v_add_u32_e32 v0, 1, v1
	v_mov_b32_e32 v1, v0
	s_waitcnt vmcnt(0)
	v_cmp_eq_u16_e32 vcc, 0, v2
	s_or_b64 s[4:5], vcc, s[4:5]
	s_andn2_b64 exec, exec, s[4:5]
	s_cbranch_execnz .LBB3_26
; %bb.27:
	s_or_b64 exec, exec, s[4:5]
	v_lshrrev_b32_e64 v31, 6, s33
	v_cmp_ne_u32_e32 vcc, -1, v31
	s_cbranch_vccz .LBB3_112
; %bb.28:
	v_lshrrev_b32_e64 v1, 6, s33
	v_subrev_u32_e32 v28, v1, v0
	v_ashrrev_i32_e32 v29, 31, v28
	v_and_b32_e32 v30, 2, v6
	v_mov_b32_e32 v33, 0
	v_and_b32_e32 v0, -3, v6
	v_mov_b32_e32 v1, v7
	s_mov_b64 s[12:13], 0
	s_mov_b32 s20, 0
	s_movk_i32 s21, 0xff1f
	v_mov_b32_e32 v10, 2
	v_mov_b32_e32 v11, 1
	s_branch .LBB3_30
.LBB3_29:                               ;   in Loop: Header=BB3_30 Depth=1
	s_or_b64 exec, exec, s[6:7]
	v_sub_co_u32_e32 v28, vcc, v28, v38
	v_subb_co_u32_e32 v29, vcc, v29, v39, vcc
	v_cmp_eq_u64_e32 vcc, 0, v[28:29]
	s_or_b64 s[12:13], vcc, s[12:13]
	v_add_u32_e32 v31, v31, v38
	s_andn2_b64 exec, exec, s[12:13]
	s_cbranch_execz .LBB3_113
.LBB3_30:                               ; =>This Loop Header: Depth=1
                                        ;     Child Loop BB3_33 Depth 2
                                        ;     Child Loop BB3_41 Depth 2
	;; [unrolled: 1-line block ×11, first 2 shown]
	v_cmp_gt_u64_e32 vcc, 56, v[28:29]
	v_cndmask_b32_e32 v38, 56, v28, vcc
	v_cmp_gt_u64_e64 s[4:5], 8, v[28:29]
                                        ; implicit-def: $vgpr2_vgpr3
                                        ; implicit-def: $sgpr14
	s_and_saveexec_b64 s[6:7], s[4:5]
	s_xor_b64 s[6:7], exec, s[6:7]
	s_cbranch_execz .LBB3_36
; %bb.31:                               ;   in Loop: Header=BB3_30 Depth=1
	s_mov_b64 s[16:17], 0
	v_cmp_ne_u64_e64 s[4:5], 0, v[28:29]
	s_waitcnt vmcnt(0)
	v_pk_mov_b32 v[2:3], 0, 0
	s_and_saveexec_b64 s[14:15], s[4:5]
	s_cbranch_execz .LBB3_35
; %bb.32:                               ;   in Loop: Header=BB3_30 Depth=1
	s_mov_b32 s22, 0
	v_pk_mov_b32 v[2:3], 0, 0
	s_mov_b64 s[18:19], 0
.LBB3_33:                               ;   Parent Loop BB3_30 Depth=1
                                        ; =>  This Inner Loop Header: Depth=2
	v_add_u32_e32 v8, s22, v31
	buffer_load_ubyte v8, v8, s[0:3], 0 offen
	v_mov_b32_e32 v9, s20
	s_add_i32 s22, s22, 1
	v_cmp_eq_u32_e64 s[4:5], s22, v38
	s_waitcnt vmcnt(0)
	v_and_b32_e32 v8, 0xffff, v8
	v_lshlrev_b64 v[8:9], s18, v[8:9]
	s_add_u32 s18, s18, 8
	s_addc_u32 s19, s19, 0
	v_or_b32_e32 v3, v9, v3
	s_or_b64 s[16:17], s[4:5], s[16:17]
	v_or_b32_e32 v2, v8, v2
	s_andn2_b64 exec, exec, s[16:17]
	s_cbranch_execnz .LBB3_33
; %bb.34:                               ;   in Loop: Header=BB3_30 Depth=1
	s_or_b64 exec, exec, s[16:17]
.LBB3_35:                               ;   in Loop: Header=BB3_30 Depth=1
	s_or_b64 exec, exec, s[14:15]
	s_mov_b32 s14, 0
.LBB3_36:                               ;   in Loop: Header=BB3_30 Depth=1
	s_or_saveexec_b64 s[4:5], s[6:7]
	v_mov_b32_e32 v9, s14
	v_mov_b32_e32 v8, v31
	s_xor_b64 exec, exec, s[4:5]
	s_cbranch_execz .LBB3_38
; %bb.37:                               ;   in Loop: Header=BB3_30 Depth=1
	buffer_load_dword v2, v31, s[0:3], 0 offen offset:4
	buffer_load_dword v3, v31, s[0:3], 0 offen
	v_add_u32_e32 v9, -8, v38
	s_waitcnt vmcnt(1)
	v_and_b32_e32 v8, 0xff, v2
	v_and_b32_e32 v12, 0xff00, v2
	s_waitcnt vmcnt(0)
	v_or3_b32 v3, v3, 0, 0
	v_and_b32_e32 v13, 0xff0000, v2
	v_and_b32_e32 v14, 0xff000000, v2
	v_or3_b32 v8, 0, v8, v12
	v_or3_b32 v2, v3, 0, 0
	;; [unrolled: 1-line block ×3, first 2 shown]
	v_add_u32_e32 v8, 8, v31
.LBB3_38:                               ;   in Loop: Header=BB3_30 Depth=1
	s_or_b64 exec, exec, s[4:5]
	v_cmp_gt_u32_e64 s[4:5], 8, v9
                                        ; implicit-def: $vgpr12_vgpr13
                                        ; implicit-def: $sgpr14
	s_and_saveexec_b64 s[6:7], s[4:5]
	s_xor_b64 s[6:7], exec, s[6:7]
	s_cbranch_execz .LBB3_44
; %bb.39:                               ;   in Loop: Header=BB3_30 Depth=1
	v_cmp_ne_u32_e64 s[4:5], 0, v9
	v_pk_mov_b32 v[12:13], 0, 0
	s_and_saveexec_b64 s[14:15], s[4:5]
	s_cbranch_execz .LBB3_43
; %bb.40:                               ;   in Loop: Header=BB3_30 Depth=1
	s_mov_b32 s22, 0
	s_mov_b64 s[16:17], 0
	v_pk_mov_b32 v[12:13], 0, 0
	s_mov_b64 s[18:19], 0
.LBB3_41:                               ;   Parent Loop BB3_30 Depth=1
                                        ; =>  This Inner Loop Header: Depth=2
	v_add_u32_e32 v14, s22, v8
	buffer_load_ubyte v14, v14, s[0:3], 0 offen
	v_mov_b32_e32 v15, s20
	s_add_i32 s22, s22, 1
	v_cmp_eq_u32_e64 s[4:5], s22, v9
	s_waitcnt vmcnt(0)
	v_and_b32_e32 v14, 0xffff, v14
	v_lshlrev_b64 v[14:15], s18, v[14:15]
	s_add_u32 s18, s18, 8
	s_addc_u32 s19, s19, 0
	v_or_b32_e32 v13, v15, v13
	s_or_b64 s[16:17], s[4:5], s[16:17]
	v_or_b32_e32 v12, v14, v12
	s_andn2_b64 exec, exec, s[16:17]
	s_cbranch_execnz .LBB3_41
; %bb.42:                               ;   in Loop: Header=BB3_30 Depth=1
	s_or_b64 exec, exec, s[16:17]
.LBB3_43:                               ;   in Loop: Header=BB3_30 Depth=1
	s_or_b64 exec, exec, s[14:15]
	s_mov_b32 s14, 0
                                        ; implicit-def: $vgpr9
.LBB3_44:                               ;   in Loop: Header=BB3_30 Depth=1
	s_or_saveexec_b64 s[4:5], s[6:7]
	v_mov_b32_e32 v16, s14
	s_xor_b64 exec, exec, s[4:5]
	s_cbranch_execz .LBB3_46
; %bb.45:                               ;   in Loop: Header=BB3_30 Depth=1
	buffer_load_dword v12, v8, s[0:3], 0 offen offset:4
	buffer_load_dword v13, v8, s[0:3], 0 offen
	v_add_u32_e32 v16, -8, v9
	v_add_u32_e32 v8, 8, v8
	s_waitcnt vmcnt(1)
	v_and_b32_e32 v9, 0xff, v12
	v_and_b32_e32 v14, 0xff00, v12
	s_waitcnt vmcnt(0)
	v_or3_b32 v13, v13, 0, 0
	v_and_b32_e32 v15, 0xff0000, v12
	v_and_b32_e32 v17, 0xff000000, v12
	v_or3_b32 v9, 0, v9, v14
	v_or3_b32 v12, v13, 0, 0
	;; [unrolled: 1-line block ×3, first 2 shown]
.LBB3_46:                               ;   in Loop: Header=BB3_30 Depth=1
	s_or_b64 exec, exec, s[4:5]
	v_cmp_gt_u32_e64 s[4:5], 8, v16
                                        ; implicit-def: $sgpr14
	s_and_saveexec_b64 s[6:7], s[4:5]
	s_xor_b64 s[6:7], exec, s[6:7]
	s_cbranch_execz .LBB3_52
; %bb.47:                               ;   in Loop: Header=BB3_30 Depth=1
	v_cmp_ne_u32_e64 s[4:5], 0, v16
	v_pk_mov_b32 v[14:15], 0, 0
	s_and_saveexec_b64 s[14:15], s[4:5]
	s_cbranch_execz .LBB3_51
; %bb.48:                               ;   in Loop: Header=BB3_30 Depth=1
	s_mov_b32 s22, 0
	s_mov_b64 s[16:17], 0
	v_pk_mov_b32 v[14:15], 0, 0
	s_mov_b64 s[18:19], 0
.LBB3_49:                               ;   Parent Loop BB3_30 Depth=1
                                        ; =>  This Inner Loop Header: Depth=2
	v_add_u32_e32 v9, s22, v8
	buffer_load_ubyte v9, v9, s[0:3], 0 offen
	v_mov_b32_e32 v19, s20
	s_add_i32 s22, s22, 1
	v_cmp_eq_u32_e64 s[4:5], s22, v16
	s_waitcnt vmcnt(0)
	v_and_b32_e32 v18, 0xffff, v9
	v_lshlrev_b64 v[18:19], s18, v[18:19]
	s_add_u32 s18, s18, 8
	s_addc_u32 s19, s19, 0
	v_or_b32_e32 v15, v19, v15
	s_or_b64 s[16:17], s[4:5], s[16:17]
	v_or_b32_e32 v14, v18, v14
	s_andn2_b64 exec, exec, s[16:17]
	s_cbranch_execnz .LBB3_49
; %bb.50:                               ;   in Loop: Header=BB3_30 Depth=1
	s_or_b64 exec, exec, s[16:17]
.LBB3_51:                               ;   in Loop: Header=BB3_30 Depth=1
	s_or_b64 exec, exec, s[14:15]
	s_mov_b32 s14, 0
                                        ; implicit-def: $vgpr16
.LBB3_52:                               ;   in Loop: Header=BB3_30 Depth=1
	s_or_saveexec_b64 s[4:5], s[6:7]
	v_mov_b32_e32 v9, s14
	s_xor_b64 exec, exec, s[4:5]
	s_cbranch_execz .LBB3_54
; %bb.53:                               ;   in Loop: Header=BB3_30 Depth=1
	buffer_load_dword v14, v8, s[0:3], 0 offen offset:4
	buffer_load_dword v15, v8, s[0:3], 0 offen
	v_add_u32_e32 v9, -8, v16
	v_add_u32_e32 v8, 8, v8
	s_waitcnt vmcnt(1)
	v_and_b32_e32 v16, 0xff, v14
	v_and_b32_e32 v17, 0xff00, v14
	s_waitcnt vmcnt(0)
	v_or3_b32 v15, v15, 0, 0
	v_and_b32_e32 v18, 0xff0000, v14
	v_and_b32_e32 v19, 0xff000000, v14
	v_or3_b32 v16, 0, v16, v17
	v_or3_b32 v14, v15, 0, 0
	;; [unrolled: 1-line block ×3, first 2 shown]
.LBB3_54:                               ;   in Loop: Header=BB3_30 Depth=1
	s_or_b64 exec, exec, s[4:5]
	v_cmp_gt_u32_e64 s[4:5], 8, v9
                                        ; implicit-def: $vgpr16_vgpr17
                                        ; implicit-def: $sgpr14
	s_and_saveexec_b64 s[6:7], s[4:5]
	s_xor_b64 s[6:7], exec, s[6:7]
	s_cbranch_execz .LBB3_60
; %bb.55:                               ;   in Loop: Header=BB3_30 Depth=1
	v_cmp_ne_u32_e64 s[4:5], 0, v9
	v_pk_mov_b32 v[16:17], 0, 0
	s_and_saveexec_b64 s[14:15], s[4:5]
	s_cbranch_execz .LBB3_59
; %bb.56:                               ;   in Loop: Header=BB3_30 Depth=1
	s_mov_b32 s22, 0
	s_mov_b64 s[16:17], 0
	v_pk_mov_b32 v[16:17], 0, 0
	s_mov_b64 s[18:19], 0
.LBB3_57:                               ;   Parent Loop BB3_30 Depth=1
                                        ; =>  This Inner Loop Header: Depth=2
	v_add_u32_e32 v18, s22, v8
	buffer_load_ubyte v18, v18, s[0:3], 0 offen
	v_mov_b32_e32 v19, s20
	s_add_i32 s22, s22, 1
	v_cmp_eq_u32_e64 s[4:5], s22, v9
	s_waitcnt vmcnt(0)
	v_and_b32_e32 v18, 0xffff, v18
	v_lshlrev_b64 v[18:19], s18, v[18:19]
	s_add_u32 s18, s18, 8
	s_addc_u32 s19, s19, 0
	v_or_b32_e32 v17, v19, v17
	s_or_b64 s[16:17], s[4:5], s[16:17]
	v_or_b32_e32 v16, v18, v16
	s_andn2_b64 exec, exec, s[16:17]
	s_cbranch_execnz .LBB3_57
; %bb.58:                               ;   in Loop: Header=BB3_30 Depth=1
	s_or_b64 exec, exec, s[16:17]
.LBB3_59:                               ;   in Loop: Header=BB3_30 Depth=1
	s_or_b64 exec, exec, s[14:15]
	s_mov_b32 s14, 0
                                        ; implicit-def: $vgpr9
.LBB3_60:                               ;   in Loop: Header=BB3_30 Depth=1
	s_or_saveexec_b64 s[4:5], s[6:7]
	v_mov_b32_e32 v20, s14
	s_xor_b64 exec, exec, s[4:5]
	s_cbranch_execz .LBB3_62
; %bb.61:                               ;   in Loop: Header=BB3_30 Depth=1
	buffer_load_dword v16, v8, s[0:3], 0 offen offset:4
	buffer_load_dword v17, v8, s[0:3], 0 offen
	v_add_u32_e32 v20, -8, v9
	v_add_u32_e32 v8, 8, v8
	s_waitcnt vmcnt(1)
	v_and_b32_e32 v9, 0xff, v16
	v_and_b32_e32 v18, 0xff00, v16
	s_waitcnt vmcnt(0)
	v_or3_b32 v17, v17, 0, 0
	v_and_b32_e32 v19, 0xff0000, v16
	v_and_b32_e32 v21, 0xff000000, v16
	v_or3_b32 v9, 0, v9, v18
	v_or3_b32 v16, v17, 0, 0
	;; [unrolled: 1-line block ×3, first 2 shown]
.LBB3_62:                               ;   in Loop: Header=BB3_30 Depth=1
	s_or_b64 exec, exec, s[4:5]
	v_cmp_gt_u32_e64 s[4:5], 8, v20
                                        ; implicit-def: $sgpr14
	s_and_saveexec_b64 s[6:7], s[4:5]
	s_xor_b64 s[6:7], exec, s[6:7]
	s_cbranch_execz .LBB3_68
; %bb.63:                               ;   in Loop: Header=BB3_30 Depth=1
	v_cmp_ne_u32_e64 s[4:5], 0, v20
	v_pk_mov_b32 v[18:19], 0, 0
	s_and_saveexec_b64 s[14:15], s[4:5]
	s_cbranch_execz .LBB3_67
; %bb.64:                               ;   in Loop: Header=BB3_30 Depth=1
	s_mov_b32 s22, 0
	s_mov_b64 s[16:17], 0
	v_pk_mov_b32 v[18:19], 0, 0
	s_mov_b64 s[18:19], 0
.LBB3_65:                               ;   Parent Loop BB3_30 Depth=1
                                        ; =>  This Inner Loop Header: Depth=2
	v_add_u32_e32 v9, s22, v8
	buffer_load_ubyte v9, v9, s[0:3], 0 offen
	v_mov_b32_e32 v23, s20
	s_add_i32 s22, s22, 1
	v_cmp_eq_u32_e64 s[4:5], s22, v20
	s_waitcnt vmcnt(0)
	v_and_b32_e32 v22, 0xffff, v9
	v_lshlrev_b64 v[22:23], s18, v[22:23]
	s_add_u32 s18, s18, 8
	s_addc_u32 s19, s19, 0
	v_or_b32_e32 v19, v23, v19
	s_or_b64 s[16:17], s[4:5], s[16:17]
	v_or_b32_e32 v18, v22, v18
	s_andn2_b64 exec, exec, s[16:17]
	s_cbranch_execnz .LBB3_65
; %bb.66:                               ;   in Loop: Header=BB3_30 Depth=1
	s_or_b64 exec, exec, s[16:17]
.LBB3_67:                               ;   in Loop: Header=BB3_30 Depth=1
	s_or_b64 exec, exec, s[14:15]
	s_mov_b32 s14, 0
                                        ; implicit-def: $vgpr20
.LBB3_68:                               ;   in Loop: Header=BB3_30 Depth=1
	s_or_saveexec_b64 s[4:5], s[6:7]
	v_mov_b32_e32 v9, s14
	s_xor_b64 exec, exec, s[4:5]
	s_cbranch_execz .LBB3_70
; %bb.69:                               ;   in Loop: Header=BB3_30 Depth=1
	buffer_load_dword v18, v8, s[0:3], 0 offen offset:4
	buffer_load_dword v19, v8, s[0:3], 0 offen
	v_add_u32_e32 v9, -8, v20
	v_add_u32_e32 v8, 8, v8
	s_waitcnt vmcnt(1)
	v_and_b32_e32 v20, 0xff, v18
	v_and_b32_e32 v21, 0xff00, v18
	s_waitcnt vmcnt(0)
	v_or3_b32 v19, v19, 0, 0
	v_and_b32_e32 v22, 0xff0000, v18
	v_and_b32_e32 v23, 0xff000000, v18
	v_or3_b32 v20, 0, v20, v21
	v_or3_b32 v18, v19, 0, 0
	;; [unrolled: 1-line block ×3, first 2 shown]
.LBB3_70:                               ;   in Loop: Header=BB3_30 Depth=1
	s_or_b64 exec, exec, s[4:5]
	v_cmp_gt_u32_e64 s[4:5], 8, v9
                                        ; implicit-def: $vgpr20_vgpr21
                                        ; implicit-def: $sgpr14
	s_and_saveexec_b64 s[6:7], s[4:5]
	s_xor_b64 s[6:7], exec, s[6:7]
	s_cbranch_execz .LBB3_76
; %bb.71:                               ;   in Loop: Header=BB3_30 Depth=1
	v_cmp_ne_u32_e64 s[4:5], 0, v9
	v_pk_mov_b32 v[20:21], 0, 0
	s_and_saveexec_b64 s[14:15], s[4:5]
	s_cbranch_execz .LBB3_75
; %bb.72:                               ;   in Loop: Header=BB3_30 Depth=1
	s_mov_b32 s22, 0
	s_mov_b64 s[16:17], 0
	v_pk_mov_b32 v[20:21], 0, 0
	s_mov_b64 s[18:19], 0
.LBB3_73:                               ;   Parent Loop BB3_30 Depth=1
                                        ; =>  This Inner Loop Header: Depth=2
	v_add_u32_e32 v22, s22, v8
	buffer_load_ubyte v22, v22, s[0:3], 0 offen
	v_mov_b32_e32 v23, s20
	s_add_i32 s22, s22, 1
	v_cmp_eq_u32_e64 s[4:5], s22, v9
	s_waitcnt vmcnt(0)
	v_and_b32_e32 v22, 0xffff, v22
	v_lshlrev_b64 v[22:23], s18, v[22:23]
	s_add_u32 s18, s18, 8
	s_addc_u32 s19, s19, 0
	v_or_b32_e32 v21, v23, v21
	s_or_b64 s[16:17], s[4:5], s[16:17]
	v_or_b32_e32 v20, v22, v20
	s_andn2_b64 exec, exec, s[16:17]
	s_cbranch_execnz .LBB3_73
; %bb.74:                               ;   in Loop: Header=BB3_30 Depth=1
	s_or_b64 exec, exec, s[16:17]
.LBB3_75:                               ;   in Loop: Header=BB3_30 Depth=1
	s_or_b64 exec, exec, s[14:15]
	s_mov_b32 s14, 0
                                        ; implicit-def: $vgpr9
.LBB3_76:                               ;   in Loop: Header=BB3_30 Depth=1
	s_or_saveexec_b64 s[4:5], s[6:7]
	v_mov_b32_e32 v24, s14
	s_xor_b64 exec, exec, s[4:5]
	s_cbranch_execz .LBB3_78
; %bb.77:                               ;   in Loop: Header=BB3_30 Depth=1
	buffer_load_dword v20, v8, s[0:3], 0 offen offset:4
	buffer_load_dword v21, v8, s[0:3], 0 offen
	v_add_u32_e32 v24, -8, v9
	v_add_u32_e32 v8, 8, v8
	s_waitcnt vmcnt(1)
	v_and_b32_e32 v9, 0xff, v20
	v_and_b32_e32 v22, 0xff00, v20
	s_waitcnt vmcnt(0)
	v_or3_b32 v21, v21, 0, 0
	v_and_b32_e32 v23, 0xff0000, v20
	v_and_b32_e32 v25, 0xff000000, v20
	v_or3_b32 v9, 0, v9, v22
	v_or3_b32 v20, v21, 0, 0
	v_or3_b32 v21, v9, v23, v25
.LBB3_78:                               ;   in Loop: Header=BB3_30 Depth=1
	s_or_b64 exec, exec, s[4:5]
	v_cmp_gt_u32_e64 s[4:5], 8, v24
	s_and_saveexec_b64 s[6:7], s[4:5]
	s_xor_b64 s[6:7], exec, s[6:7]
	s_cbranch_execz .LBB3_84
; %bb.79:                               ;   in Loop: Header=BB3_30 Depth=1
	v_cmp_ne_u32_e64 s[4:5], 0, v24
	v_pk_mov_b32 v[22:23], 0, 0
	s_and_saveexec_b64 s[14:15], s[4:5]
	s_cbranch_execz .LBB3_83
; %bb.80:                               ;   in Loop: Header=BB3_30 Depth=1
	s_mov_b64 s[16:17], 0
	v_pk_mov_b32 v[22:23], 0, 0
	s_mov_b64 s[18:19], 0
.LBB3_81:                               ;   Parent Loop BB3_30 Depth=1
                                        ; =>  This Inner Loop Header: Depth=2
	buffer_load_ubyte v9, v8, s[0:3], 0 offen
	v_mov_b32_e32 v27, s20
	v_add_u32_e32 v24, -1, v24
	v_cmp_eq_u32_e64 s[4:5], 0, v24
	v_add_u32_e32 v8, 1, v8
	s_waitcnt vmcnt(0)
	v_and_b32_e32 v26, 0xffff, v9
	v_lshlrev_b64 v[26:27], s18, v[26:27]
	s_add_u32 s18, s18, 8
	s_addc_u32 s19, s19, 0
	v_or_b32_e32 v23, v27, v23
	s_or_b64 s[16:17], s[4:5], s[16:17]
	v_or_b32_e32 v22, v26, v22
	s_andn2_b64 exec, exec, s[16:17]
	s_cbranch_execnz .LBB3_81
; %bb.82:                               ;   in Loop: Header=BB3_30 Depth=1
	s_or_b64 exec, exec, s[16:17]
.LBB3_83:                               ;   in Loop: Header=BB3_30 Depth=1
	s_or_b64 exec, exec, s[14:15]
                                        ; implicit-def: $vgpr8
.LBB3_84:                               ;   in Loop: Header=BB3_30 Depth=1
	s_andn2_saveexec_b64 s[4:5], s[6:7]
	s_cbranch_execz .LBB3_86
; %bb.85:                               ;   in Loop: Header=BB3_30 Depth=1
	buffer_load_dword v9, v8, s[0:3], 0 offen offset:4
	buffer_load_dword v22, v8, s[0:3], 0 offen
	s_waitcnt vmcnt(1)
	v_and_b32_e32 v8, 0xff, v9
	v_and_b32_e32 v23, 0xff00, v9
	s_waitcnt vmcnt(0)
	v_or3_b32 v22, v22, 0, 0
	v_and_b32_e32 v24, 0xff0000, v9
	v_and_b32_e32 v9, 0xff000000, v9
	v_or3_b32 v8, 0, v8, v23
	v_or3_b32 v23, v8, v24, v9
	;; [unrolled: 1-line block ×3, first 2 shown]
.LBB3_86:                               ;   in Loop: Header=BB3_30 Depth=1
	s_or_b64 exec, exec, s[4:5]
	v_readfirstlane_b32 s4, v37
	v_cmp_eq_u32_e64 s[4:5], s4, v37
	v_pk_mov_b32 v[8:9], 0, 0
	s_and_saveexec_b64 s[14:15], s[4:5]
	s_cbranch_execz .LBB3_92
; %bb.87:                               ;   in Loop: Header=BB3_30 Depth=1
	global_load_dwordx2 v[26:27], v33, s[10:11] offset:24 glc
	s_waitcnt vmcnt(0)
	buffer_invl2
	buffer_wbinvl1_vol
	global_load_dwordx2 v[8:9], v33, s[10:11] offset:40
	global_load_dwordx2 v[24:25], v33, s[10:11]
	s_waitcnt vmcnt(1)
	v_and_b32_e32 v8, v8, v26
	v_and_b32_e32 v9, v9, v27
	v_mul_lo_u32 v9, v9, 24
	v_mul_hi_u32 v32, v8, 24
	v_mul_lo_u32 v8, v8, 24
	v_add_u32_e32 v9, v32, v9
	s_waitcnt vmcnt(0)
	v_add_co_u32_e64 v8, s[6:7], v24, v8
	v_addc_co_u32_e64 v9, s[6:7], v25, v9, s[6:7]
	global_load_dwordx2 v[24:25], v[8:9], off glc
	s_waitcnt vmcnt(0)
	global_atomic_cmpswap_x2 v[8:9], v33, v[24:27], s[10:11] offset:24 glc
	s_waitcnt vmcnt(0)
	buffer_invl2
	buffer_wbinvl1_vol
	v_cmp_ne_u64_e64 s[6:7], v[8:9], v[26:27]
	s_and_saveexec_b64 s[16:17], s[6:7]
	s_cbranch_execz .LBB3_91
; %bb.88:                               ;   in Loop: Header=BB3_30 Depth=1
	s_mov_b64 s[18:19], 0
.LBB3_89:                               ;   Parent Loop BB3_30 Depth=1
                                        ; =>  This Inner Loop Header: Depth=2
	s_sleep 1
	global_load_dwordx2 v[24:25], v33, s[10:11] offset:40
	global_load_dwordx2 v[34:35], v33, s[10:11]
	v_pk_mov_b32 v[26:27], v[8:9], v[8:9] op_sel:[0,1]
	s_waitcnt vmcnt(1)
	v_and_b32_e32 v8, v24, v26
	s_waitcnt vmcnt(0)
	v_mad_u64_u32 v[8:9], s[6:7], v8, 24, v[34:35]
	v_and_b32_e32 v25, v25, v27
	v_mov_b32_e32 v24, v9
	v_mad_u64_u32 v[24:25], s[6:7], v25, 24, v[24:25]
	v_mov_b32_e32 v9, v24
	global_load_dwordx2 v[24:25], v[8:9], off glc
	s_waitcnt vmcnt(0)
	global_atomic_cmpswap_x2 v[8:9], v33, v[24:27], s[10:11] offset:24 glc
	s_waitcnt vmcnt(0)
	buffer_invl2
	buffer_wbinvl1_vol
	v_cmp_eq_u64_e64 s[6:7], v[8:9], v[26:27]
	s_or_b64 s[18:19], s[6:7], s[18:19]
	s_andn2_b64 exec, exec, s[18:19]
	s_cbranch_execnz .LBB3_89
; %bb.90:                               ;   in Loop: Header=BB3_30 Depth=1
	s_or_b64 exec, exec, s[18:19]
.LBB3_91:                               ;   in Loop: Header=BB3_30 Depth=1
	s_or_b64 exec, exec, s[16:17]
.LBB3_92:                               ;   in Loop: Header=BB3_30 Depth=1
	s_or_b64 exec, exec, s[14:15]
	global_load_dwordx2 v[34:35], v33, s[10:11] offset:40
	global_load_dwordx4 v[24:27], v33, s[10:11]
	v_readfirstlane_b32 s14, v8
	v_readfirstlane_b32 s15, v9
	s_mov_b64 s[16:17], exec
	s_waitcnt vmcnt(1)
	v_readfirstlane_b32 s6, v34
	v_readfirstlane_b32 s7, v35
	s_and_b64 s[18:19], s[14:15], s[6:7]
	s_mul_i32 s6, s19, 24
	s_mul_hi_u32 s7, s18, 24
	s_mul_i32 s22, s18, 24
	s_add_i32 s6, s7, s6
	v_mov_b32_e32 v8, s6
	s_waitcnt vmcnt(0)
	v_add_co_u32_e64 v34, s[6:7], s22, v24
	v_addc_co_u32_e64 v35, s[6:7], v25, v8, s[6:7]
	s_and_saveexec_b64 s[6:7], s[4:5]
	s_cbranch_execz .LBB3_94
; %bb.93:                               ;   in Loop: Header=BB3_30 Depth=1
	v_pk_mov_b32 v[8:9], s[16:17], s[16:17] op_sel:[0,1]
	global_store_dwordx4 v[34:35], v[8:11], off offset:8
.LBB3_94:                               ;   in Loop: Header=BB3_30 Depth=1
	s_or_b64 exec, exec, s[6:7]
	s_lshl_b64 s[6:7], s[18:19], 12
	v_cndmask_b32_e32 v39, 0, v29, vcc
	v_mov_b32_e32 v9, s7
	v_add_co_u32_e32 v8, vcc, s6, v26
	v_addc_co_u32_e32 v9, vcc, v27, v9, vcc
	v_or_b32_e32 v26, 0, v1
	v_cmp_lt_u64_e32 vcc, 56, v[28:29]
	v_or_b32_e32 v27, v0, v30
	v_cndmask_b32_e32 v1, v26, v1, vcc
	v_lshl_add_u32 v26, v38, 2, 28
	v_cndmask_b32_e32 v0, v27, v0, vcc
	v_and_b32_e32 v26, 0x1e0, v26
	v_and_or_b32 v0, v0, s21, v26
	v_readfirstlane_b32 s6, v8
	v_readfirstlane_b32 s7, v9
	s_nop 4
	global_store_dwordx4 v36, v[0:3], s[6:7]
	global_store_dwordx4 v36, v[12:15], s[6:7] offset:16
	global_store_dwordx4 v36, v[16:19], s[6:7] offset:32
	;; [unrolled: 1-line block ×3, first 2 shown]
	s_and_saveexec_b64 s[6:7], s[4:5]
	s_cbranch_execz .LBB3_102
; %bb.95:                               ;   in Loop: Header=BB3_30 Depth=1
	global_load_dwordx2 v[16:17], v33, s[10:11] offset:32 glc
	global_load_dwordx2 v[0:1], v33, s[10:11] offset:40
	v_mov_b32_e32 v14, s14
	v_mov_b32_e32 v15, s15
	s_waitcnt vmcnt(0)
	v_readfirstlane_b32 s16, v0
	v_readfirstlane_b32 s17, v1
	s_and_b64 s[16:17], s[16:17], s[14:15]
	s_mul_i32 s17, s17, 24
	s_mul_hi_u32 s18, s16, 24
	s_mul_i32 s16, s16, 24
	s_add_i32 s17, s18, s17
	v_mov_b32_e32 v0, s17
	v_add_co_u32_e32 v12, vcc, s16, v24
	v_addc_co_u32_e32 v13, vcc, v25, v0, vcc
	global_store_dwordx2 v[12:13], v[16:17], off
	buffer_wbl2
	s_waitcnt vmcnt(0)
	global_atomic_cmpswap_x2 v[2:3], v33, v[14:17], s[10:11] offset:32 glc
	s_waitcnt vmcnt(0)
	v_cmp_ne_u64_e32 vcc, v[2:3], v[16:17]
	s_and_saveexec_b64 s[16:17], vcc
	s_cbranch_execz .LBB3_98
; %bb.96:                               ;   in Loop: Header=BB3_30 Depth=1
	s_mov_b64 s[18:19], 0
.LBB3_97:                               ;   Parent Loop BB3_30 Depth=1
                                        ; =>  This Inner Loop Header: Depth=2
	s_sleep 1
	global_store_dwordx2 v[12:13], v[2:3], off
	v_mov_b32_e32 v0, s14
	v_mov_b32_e32 v1, s15
	buffer_wbl2
	s_waitcnt vmcnt(0)
	global_atomic_cmpswap_x2 v[0:1], v33, v[0:3], s[10:11] offset:32 glc
	s_waitcnt vmcnt(0)
	v_cmp_eq_u64_e32 vcc, v[0:1], v[2:3]
	s_or_b64 s[18:19], vcc, s[18:19]
	v_pk_mov_b32 v[2:3], v[0:1], v[0:1] op_sel:[0,1]
	s_andn2_b64 exec, exec, s[18:19]
	s_cbranch_execnz .LBB3_97
.LBB3_98:                               ;   in Loop: Header=BB3_30 Depth=1
	s_or_b64 exec, exec, s[16:17]
	global_load_dwordx2 v[0:1], v33, s[10:11] offset:16
	s_mov_b64 s[18:19], exec
	v_mbcnt_lo_u32_b32 v2, s18, 0
	v_mbcnt_hi_u32_b32 v2, s19, v2
	v_cmp_eq_u32_e32 vcc, 0, v2
	s_and_saveexec_b64 s[16:17], vcc
	s_cbranch_execz .LBB3_100
; %bb.99:                               ;   in Loop: Header=BB3_30 Depth=1
	s_bcnt1_i32_b64 s18, s[18:19]
	v_mov_b32_e32 v32, s18
	buffer_wbl2
	s_waitcnt vmcnt(0)
	global_atomic_add_x2 v[0:1], v[32:33], off offset:8
.LBB3_100:                              ;   in Loop: Header=BB3_30 Depth=1
	s_or_b64 exec, exec, s[16:17]
	s_waitcnt vmcnt(0)
	global_load_dwordx2 v[2:3], v[0:1], off offset:16
	s_waitcnt vmcnt(0)
	v_cmp_eq_u64_e32 vcc, 0, v[2:3]
	s_cbranch_vccnz .LBB3_102
; %bb.101:                              ;   in Loop: Header=BB3_30 Depth=1
	global_load_dword v32, v[0:1], off offset:24
	s_waitcnt vmcnt(0)
	v_and_b32_e32 v0, 0xffffff, v32
	v_readfirstlane_b32 m0, v0
	buffer_wbl2
	global_store_dwordx2 v[2:3], v[32:33], off
	s_sendmsg sendmsg(MSG_INTERRUPT)
.LBB3_102:                              ;   in Loop: Header=BB3_30 Depth=1
	s_or_b64 exec, exec, s[6:7]
	v_add_co_u32_e32 v0, vcc, v8, v36
	v_addc_co_u32_e32 v1, vcc, 0, v9, vcc
	s_branch .LBB3_106
.LBB3_103:                              ;   in Loop: Header=BB3_106 Depth=2
	s_or_b64 exec, exec, s[6:7]
	v_readfirstlane_b32 s6, v2
	s_cmp_eq_u32 s6, 0
	s_cbranch_scc1 .LBB3_105
; %bb.104:                              ;   in Loop: Header=BB3_106 Depth=2
	s_sleep 1
	s_cbranch_execnz .LBB3_106
	s_branch .LBB3_108
.LBB3_105:                              ;   in Loop: Header=BB3_30 Depth=1
	s_branch .LBB3_108
.LBB3_106:                              ;   Parent Loop BB3_30 Depth=1
                                        ; =>  This Inner Loop Header: Depth=2
	v_mov_b32_e32 v2, 1
	s_and_saveexec_b64 s[6:7], s[4:5]
	s_cbranch_execz .LBB3_103
; %bb.107:                              ;   in Loop: Header=BB3_106 Depth=2
	global_load_dword v2, v[34:35], off offset:20 glc
	s_waitcnt vmcnt(0)
	buffer_invl2
	buffer_wbinvl1_vol
	v_and_b32_e32 v2, 1, v2
	s_branch .LBB3_103
.LBB3_108:                              ;   in Loop: Header=BB3_30 Depth=1
	global_load_dwordx4 v[0:3], v[0:1], off
	s_and_saveexec_b64 s[6:7], s[4:5]
	s_cbranch_execz .LBB3_29
; %bb.109:                              ;   in Loop: Header=BB3_30 Depth=1
	global_load_dwordx2 v[2:3], v33, s[10:11] offset:40
	global_load_dwordx2 v[8:9], v33, s[10:11] offset:24 glc
	global_load_dwordx2 v[16:17], v33, s[10:11]
	v_mov_b32_e32 v13, s15
	s_waitcnt vmcnt(2)
	v_add_co_u32_e32 v15, vcc, 1, v2
	v_addc_co_u32_e32 v18, vcc, 0, v3, vcc
	v_add_co_u32_e32 v12, vcc, s14, v15
	v_addc_co_u32_e32 v13, vcc, v18, v13, vcc
	v_cmp_eq_u64_e32 vcc, 0, v[12:13]
	v_cndmask_b32_e32 v13, v13, v18, vcc
	v_cndmask_b32_e32 v12, v12, v15, vcc
	v_and_b32_e32 v3, v13, v3
	v_and_b32_e32 v2, v12, v2
	v_mul_lo_u32 v3, v3, 24
	v_mul_hi_u32 v15, v2, 24
	v_mul_lo_u32 v2, v2, 24
	v_add_u32_e32 v3, v15, v3
	s_waitcnt vmcnt(0)
	v_add_co_u32_e32 v2, vcc, v16, v2
	v_addc_co_u32_e32 v3, vcc, v17, v3, vcc
	v_mov_b32_e32 v14, v8
	global_store_dwordx2 v[2:3], v[8:9], off
	v_mov_b32_e32 v15, v9
	buffer_wbl2
	s_waitcnt vmcnt(0)
	global_atomic_cmpswap_x2 v[14:15], v33, v[12:15], s[10:11] offset:24 glc
	s_waitcnt vmcnt(0)
	v_cmp_ne_u64_e32 vcc, v[14:15], v[8:9]
	s_and_b64 exec, exec, vcc
	s_cbranch_execz .LBB3_29
; %bb.110:                              ;   in Loop: Header=BB3_30 Depth=1
	s_mov_b64 s[4:5], 0
.LBB3_111:                              ;   Parent Loop BB3_30 Depth=1
                                        ; =>  This Inner Loop Header: Depth=2
	s_sleep 1
	global_store_dwordx2 v[2:3], v[14:15], off
	buffer_wbl2
	s_waitcnt vmcnt(0)
	global_atomic_cmpswap_x2 v[8:9], v33, v[12:15], s[10:11] offset:24 glc
	s_waitcnt vmcnt(0)
	v_cmp_eq_u64_e32 vcc, v[8:9], v[14:15]
	s_or_b64 s[4:5], vcc, s[4:5]
	v_pk_mov_b32 v[14:15], v[8:9], v[8:9] op_sel:[0,1]
	s_andn2_b64 exec, exec, s[4:5]
	s_cbranch_execnz .LBB3_111
	s_branch .LBB3_29
.LBB3_112:
                                        ; implicit-def: $vgpr0_vgpr1
	s_cbranch_execnz .LBB3_114
	s_branch .LBB3_140
.LBB3_113:
	s_or_b64 exec, exec, s[12:13]
	s_branch .LBB3_140
.LBB3_114:
	v_readfirstlane_b32 s4, v37
	v_cmp_eq_u32_e64 s[4:5], s4, v37
	v_pk_mov_b32 v[10:11], 0, 0
	s_and_saveexec_b64 s[6:7], s[4:5]
	s_cbranch_execz .LBB3_120
; %bb.115:
	s_waitcnt vmcnt(0)
	v_mov_b32_e32 v0, 0
	global_load_dwordx2 v[12:13], v0, s[10:11] offset:24 glc
	s_waitcnt vmcnt(0)
	buffer_invl2
	buffer_wbinvl1_vol
	global_load_dwordx2 v[2:3], v0, s[10:11] offset:40
	global_load_dwordx2 v[8:9], v0, s[10:11]
	s_waitcnt vmcnt(1)
	v_and_b32_e32 v1, v2, v12
	v_and_b32_e32 v2, v3, v13
	v_mul_lo_u32 v2, v2, 24
	v_mul_hi_u32 v3, v1, 24
	v_mul_lo_u32 v1, v1, 24
	v_add_u32_e32 v3, v3, v2
	s_waitcnt vmcnt(0)
	v_add_co_u32_e32 v2, vcc, v8, v1
	v_addc_co_u32_e32 v3, vcc, v9, v3, vcc
	global_load_dwordx2 v[10:11], v[2:3], off glc
	s_waitcnt vmcnt(0)
	global_atomic_cmpswap_x2 v[10:11], v0, v[10:13], s[10:11] offset:24 glc
	s_waitcnt vmcnt(0)
	buffer_invl2
	buffer_wbinvl1_vol
	v_cmp_ne_u64_e32 vcc, v[10:11], v[12:13]
	s_and_saveexec_b64 s[12:13], vcc
	s_cbranch_execz .LBB3_119
; %bb.116:
	s_mov_b64 s[14:15], 0
.LBB3_117:                              ; =>This Inner Loop Header: Depth=1
	s_sleep 1
	global_load_dwordx2 v[2:3], v0, s[10:11] offset:40
	global_load_dwordx2 v[8:9], v0, s[10:11]
	v_pk_mov_b32 v[12:13], v[10:11], v[10:11] op_sel:[0,1]
	s_waitcnt vmcnt(1)
	v_and_b32_e32 v2, v2, v12
	v_and_b32_e32 v1, v3, v13
	s_waitcnt vmcnt(0)
	v_mad_u64_u32 v[2:3], s[16:17], v2, 24, v[8:9]
	v_mov_b32_e32 v8, v3
	v_mad_u64_u32 v[8:9], s[16:17], v1, 24, v[8:9]
	v_mov_b32_e32 v3, v8
	global_load_dwordx2 v[10:11], v[2:3], off glc
	s_waitcnt vmcnt(0)
	global_atomic_cmpswap_x2 v[10:11], v0, v[10:13], s[10:11] offset:24 glc
	s_waitcnt vmcnt(0)
	buffer_invl2
	buffer_wbinvl1_vol
	v_cmp_eq_u64_e32 vcc, v[10:11], v[12:13]
	s_or_b64 s[14:15], vcc, s[14:15]
	s_andn2_b64 exec, exec, s[14:15]
	s_cbranch_execnz .LBB3_117
; %bb.118:
	s_or_b64 exec, exec, s[14:15]
.LBB3_119:
	s_or_b64 exec, exec, s[12:13]
.LBB3_120:
	s_or_b64 exec, exec, s[6:7]
	v_mov_b32_e32 v8, 0
	global_load_dwordx2 v[12:13], v8, s[10:11] offset:40
	global_load_dwordx4 v[0:3], v8, s[10:11]
	v_readfirstlane_b32 s6, v10
	v_readfirstlane_b32 s7, v11
	s_mov_b64 s[12:13], exec
	s_waitcnt vmcnt(1)
	v_readfirstlane_b32 s14, v12
	v_readfirstlane_b32 s15, v13
	s_and_b64 s[14:15], s[6:7], s[14:15]
	s_mul_i32 s16, s15, 24
	s_mul_hi_u32 s17, s14, 24
	s_mul_i32 s18, s14, 24
	s_add_i32 s16, s17, s16
	v_mov_b32_e32 v9, s16
	s_waitcnt vmcnt(0)
	v_add_co_u32_e32 v10, vcc, s18, v0
	v_addc_co_u32_e32 v11, vcc, v1, v9, vcc
	s_and_saveexec_b64 s[16:17], s[4:5]
	s_cbranch_execz .LBB3_122
; %bb.121:
	v_pk_mov_b32 v[12:13], s[12:13], s[12:13] op_sel:[0,1]
	v_mov_b32_e32 v14, 2
	v_mov_b32_e32 v15, 1
	global_store_dwordx4 v[10:11], v[12:15], off offset:8
.LBB3_122:
	s_or_b64 exec, exec, s[16:17]
	s_lshl_b64 s[12:13], s[14:15], 12
	v_mov_b32_e32 v9, s13
	v_add_co_u32_e32 v2, vcc, s12, v2
	s_movk_i32 s12, 0xff1f
	v_addc_co_u32_e32 v3, vcc, v3, v9, vcc
	v_and_or_b32 v6, v6, s12, 32
	s_mov_b32 s12, 0
	v_mov_b32_e32 v9, v8
	v_readfirstlane_b32 s16, v2
	v_readfirstlane_b32 s17, v3
	s_mov_b32 s13, s12
	v_add_co_u32_e32 v12, vcc, v2, v36
	s_mov_b32 s14, s12
	s_mov_b32 s15, s12
	s_nop 0
	global_store_dwordx4 v36, v[6:9], s[16:17]
	v_addc_co_u32_e32 v13, vcc, 0, v3, vcc
	v_pk_mov_b32 v[6:7], s[12:13], s[12:13] op_sel:[0,1]
	v_pk_mov_b32 v[8:9], s[14:15], s[14:15] op_sel:[0,1]
	global_store_dwordx4 v36, v[6:9], s[16:17] offset:16
	global_store_dwordx4 v36, v[6:9], s[16:17] offset:32
	;; [unrolled: 1-line block ×3, first 2 shown]
	s_and_saveexec_b64 s[12:13], s[4:5]
	s_cbranch_execz .LBB3_130
; %bb.123:
	v_mov_b32_e32 v8, 0
	global_load_dwordx2 v[16:17], v8, s[10:11] offset:32 glc
	global_load_dwordx2 v[2:3], v8, s[10:11] offset:40
	v_mov_b32_e32 v14, s6
	v_mov_b32_e32 v15, s7
	s_waitcnt vmcnt(0)
	v_readfirstlane_b32 s14, v2
	v_readfirstlane_b32 s15, v3
	s_and_b64 s[14:15], s[14:15], s[6:7]
	s_mul_i32 s15, s15, 24
	s_mul_hi_u32 s16, s14, 24
	s_mul_i32 s14, s14, 24
	s_add_i32 s15, s16, s15
	v_mov_b32_e32 v2, s15
	v_add_co_u32_e32 v6, vcc, s14, v0
	v_addc_co_u32_e32 v7, vcc, v1, v2, vcc
	global_store_dwordx2 v[6:7], v[16:17], off
	buffer_wbl2
	s_waitcnt vmcnt(0)
	global_atomic_cmpswap_x2 v[2:3], v8, v[14:17], s[10:11] offset:32 glc
	s_waitcnt vmcnt(0)
	v_cmp_ne_u64_e32 vcc, v[2:3], v[16:17]
	s_and_saveexec_b64 s[14:15], vcc
	s_cbranch_execz .LBB3_126
; %bb.124:
	s_mov_b64 s[16:17], 0
.LBB3_125:                              ; =>This Inner Loop Header: Depth=1
	s_sleep 1
	global_store_dwordx2 v[6:7], v[2:3], off
	v_mov_b32_e32 v0, s6
	v_mov_b32_e32 v1, s7
	buffer_wbl2
	s_waitcnt vmcnt(0)
	global_atomic_cmpswap_x2 v[0:1], v8, v[0:3], s[10:11] offset:32 glc
	s_waitcnt vmcnt(0)
	v_cmp_eq_u64_e32 vcc, v[0:1], v[2:3]
	s_or_b64 s[16:17], vcc, s[16:17]
	v_pk_mov_b32 v[2:3], v[0:1], v[0:1] op_sel:[0,1]
	s_andn2_b64 exec, exec, s[16:17]
	s_cbranch_execnz .LBB3_125
.LBB3_126:
	s_or_b64 exec, exec, s[14:15]
	v_mov_b32_e32 v3, 0
	global_load_dwordx2 v[0:1], v3, s[10:11] offset:16
	s_mov_b64 s[14:15], exec
	v_mbcnt_lo_u32_b32 v2, s14, 0
	v_mbcnt_hi_u32_b32 v2, s15, v2
	v_cmp_eq_u32_e32 vcc, 0, v2
	s_and_saveexec_b64 s[16:17], vcc
	s_cbranch_execz .LBB3_128
; %bb.127:
	s_bcnt1_i32_b64 s14, s[14:15]
	v_mov_b32_e32 v2, s14
	buffer_wbl2
	s_waitcnt vmcnt(0)
	global_atomic_add_x2 v[0:1], v[2:3], off offset:8
.LBB3_128:
	s_or_b64 exec, exec, s[16:17]
	s_waitcnt vmcnt(0)
	global_load_dwordx2 v[2:3], v[0:1], off offset:16
	s_waitcnt vmcnt(0)
	v_cmp_eq_u64_e32 vcc, 0, v[2:3]
	s_cbranch_vccnz .LBB3_130
; %bb.129:
	global_load_dword v0, v[0:1], off offset:24
	v_mov_b32_e32 v1, 0
	buffer_wbl2
	s_waitcnt vmcnt(0)
	global_store_dwordx2 v[2:3], v[0:1], off
	v_and_b32_e32 v0, 0xffffff, v0
	v_readfirstlane_b32 m0, v0
	s_sendmsg sendmsg(MSG_INTERRUPT)
.LBB3_130:
	s_or_b64 exec, exec, s[12:13]
	s_branch .LBB3_134
.LBB3_131:                              ;   in Loop: Header=BB3_134 Depth=1
	s_or_b64 exec, exec, s[12:13]
	v_readfirstlane_b32 s12, v0
	s_cmp_eq_u32 s12, 0
	s_cbranch_scc1 .LBB3_133
; %bb.132:                              ;   in Loop: Header=BB3_134 Depth=1
	s_sleep 1
	s_cbranch_execnz .LBB3_134
	s_branch .LBB3_136
.LBB3_133:
	s_branch .LBB3_136
.LBB3_134:                              ; =>This Inner Loop Header: Depth=1
	v_mov_b32_e32 v0, 1
	s_and_saveexec_b64 s[12:13], s[4:5]
	s_cbranch_execz .LBB3_131
; %bb.135:                              ;   in Loop: Header=BB3_134 Depth=1
	global_load_dword v0, v[10:11], off offset:20 glc
	s_waitcnt vmcnt(0)
	buffer_invl2
	buffer_wbinvl1_vol
	v_and_b32_e32 v0, 1, v0
	s_branch .LBB3_131
.LBB3_136:
	global_load_dwordx2 v[0:1], v[12:13], off
	s_and_saveexec_b64 s[12:13], s[4:5]
	s_cbranch_execz .LBB3_139
; %bb.137:
	v_mov_b32_e32 v10, 0
	global_load_dwordx2 v[2:3], v10, s[10:11] offset:40
	global_load_dwordx2 v[12:13], v10, s[10:11] offset:24 glc
	global_load_dwordx2 v[14:15], v10, s[10:11]
	v_mov_b32_e32 v7, s7
	s_mov_b64 s[4:5], 0
	s_waitcnt vmcnt(2)
	v_add_co_u32_e32 v9, vcc, 1, v2
	v_addc_co_u32_e32 v11, vcc, 0, v3, vcc
	v_add_co_u32_e32 v6, vcc, s6, v9
	v_addc_co_u32_e32 v7, vcc, v11, v7, vcc
	v_cmp_eq_u64_e32 vcc, 0, v[6:7]
	v_cndmask_b32_e32 v7, v7, v11, vcc
	v_cndmask_b32_e32 v6, v6, v9, vcc
	v_and_b32_e32 v3, v7, v3
	v_and_b32_e32 v2, v6, v2
	v_mul_lo_u32 v3, v3, 24
	v_mul_hi_u32 v9, v2, 24
	v_mul_lo_u32 v2, v2, 24
	v_add_u32_e32 v3, v9, v3
	s_waitcnt vmcnt(0)
	v_add_co_u32_e32 v2, vcc, v14, v2
	v_addc_co_u32_e32 v3, vcc, v15, v3, vcc
	v_mov_b32_e32 v8, v12
	global_store_dwordx2 v[2:3], v[12:13], off
	v_mov_b32_e32 v9, v13
	buffer_wbl2
	s_waitcnt vmcnt(0)
	global_atomic_cmpswap_x2 v[8:9], v10, v[6:9], s[10:11] offset:24 glc
	s_waitcnt vmcnt(0)
	v_cmp_ne_u64_e32 vcc, v[8:9], v[12:13]
	s_and_b64 exec, exec, vcc
	s_cbranch_execz .LBB3_139
.LBB3_138:                              ; =>This Inner Loop Header: Depth=1
	s_sleep 1
	global_store_dwordx2 v[2:3], v[8:9], off
	buffer_wbl2
	s_waitcnt vmcnt(0)
	global_atomic_cmpswap_x2 v[12:13], v10, v[6:9], s[10:11] offset:24 glc
	s_waitcnt vmcnt(0)
	v_cmp_eq_u64_e32 vcc, v[12:13], v[8:9]
	s_or_b64 s[4:5], vcc, s[4:5]
	v_pk_mov_b32 v[8:9], v[12:13], v[12:13] op_sel:[0,1]
	s_andn2_b64 exec, exec, s[4:5]
	s_cbranch_execnz .LBB3_138
.LBB3_139:
	s_or_b64 exec, exec, s[12:13]
.LBB3_140:
	s_getpc_b64 s[6:7]
	s_add_u32 s6, s6, .str.3@rel32@lo+4
	s_addc_u32 s7, s7, .str.3@rel32@hi+12
	s_cmp_lg_u64 s[6:7], 0
	s_cbranch_scc0 .LBB3_224
; %bb.141:
	s_getpc_b64 s[4:5]
	s_add_u32 s4, s4, .str.3@rel32@lo+80
	s_addc_u32 s5, s5, .str.3@rel32@hi+88
	s_sub_i32 s12, s4, s6
	s_ashr_i32 s13, s12, 31
	s_waitcnt vmcnt(0)
	v_and_b32_e32 v2, 2, v0
	v_mov_b32_e32 v33, 0
	v_and_b32_e32 v6, -3, v0
	v_mov_b32_e32 v7, v1
	v_mov_b32_e32 v10, 2
	;; [unrolled: 1-line block ×3, first 2 shown]
	s_branch .LBB3_143
.LBB3_142:                              ;   in Loop: Header=BB3_143 Depth=1
	s_or_b64 exec, exec, s[18:19]
	s_sub_u32 s12, s12, s14
	s_subb_u32 s13, s13, s15
	s_add_u32 s6, s6, s14
	s_addc_u32 s7, s7, s15
	s_cmp_lg_u64 s[12:13], 0
	s_cbranch_scc0 .LBB3_225
.LBB3_143:                              ; =>This Loop Header: Depth=1
                                        ;     Child Loop BB3_146 Depth 2
                                        ;     Child Loop BB3_153 Depth 2
	;; [unrolled: 1-line block ×11, first 2 shown]
	v_cmp_lt_u64_e64 s[4:5], s[12:13], 56
	s_and_b64 s[4:5], s[4:5], exec
	v_cmp_gt_u64_e64 s[4:5], s[12:13], 7
	s_cselect_b32 s15, s13, 0
	s_cselect_b32 s14, s12, 56
	s_and_b64 vcc, exec, s[4:5]
	s_cbranch_vccnz .LBB3_148
; %bb.144:                              ;   in Loop: Header=BB3_143 Depth=1
	s_mov_b64 s[4:5], 0
	s_cmp_eq_u64 s[12:13], 0
	v_pk_mov_b32 v[14:15], 0, 0
	s_cbranch_scc1 .LBB3_147
; %bb.145:                              ;   in Loop: Header=BB3_143 Depth=1
	s_lshl_b64 s[16:17], s[14:15], 3
	s_mov_b64 s[18:19], 0
	v_pk_mov_b32 v[14:15], 0, 0
	s_mov_b64 s[20:21], s[6:7]
.LBB3_146:                              ;   Parent Loop BB3_143 Depth=1
                                        ; =>  This Inner Loop Header: Depth=2
	global_load_ubyte v3, v33, s[20:21]
	s_waitcnt vmcnt(0)
	v_and_b32_e32 v32, 0xffff, v3
	v_lshlrev_b64 v[8:9], s18, v[32:33]
	s_add_u32 s18, s18, 8
	s_addc_u32 s19, s19, 0
	s_add_u32 s20, s20, 1
	s_addc_u32 s21, s21, 0
	v_or_b32_e32 v14, v8, v14
	s_cmp_lg_u32 s16, s18
	v_or_b32_e32 v15, v9, v15
	s_cbranch_scc1 .LBB3_146
.LBB3_147:                              ;   in Loop: Header=BB3_143 Depth=1
	s_mov_b32 s20, 0
	s_andn2_b64 vcc, exec, s[4:5]
	s_mov_b64 s[4:5], s[6:7]
	s_cbranch_vccz .LBB3_149
	s_branch .LBB3_150
.LBB3_148:                              ;   in Loop: Header=BB3_143 Depth=1
                                        ; implicit-def: $vgpr14_vgpr15
                                        ; implicit-def: $sgpr20
	s_mov_b64 s[4:5], s[6:7]
.LBB3_149:                              ;   in Loop: Header=BB3_143 Depth=1
	global_load_dwordx2 v[14:15], v33, s[6:7]
	s_add_i32 s20, s14, -8
	s_add_u32 s4, s6, 8
	s_addc_u32 s5, s7, 0
.LBB3_150:                              ;   in Loop: Header=BB3_143 Depth=1
	s_cmp_gt_u32 s20, 7
	s_cbranch_scc1 .LBB3_154
; %bb.151:                              ;   in Loop: Header=BB3_143 Depth=1
	s_cmp_eq_u32 s20, 0
	s_cbranch_scc1 .LBB3_155
; %bb.152:                              ;   in Loop: Header=BB3_143 Depth=1
	s_mov_b64 s[16:17], 0
	v_pk_mov_b32 v[16:17], 0, 0
	s_mov_b64 s[18:19], 0
.LBB3_153:                              ;   Parent Loop BB3_143 Depth=1
                                        ; =>  This Inner Loop Header: Depth=2
	s_add_u32 s22, s4, s18
	s_addc_u32 s23, s5, s19
	global_load_ubyte v3, v33, s[22:23]
	s_add_u32 s18, s18, 1
	s_addc_u32 s19, s19, 0
	s_waitcnt vmcnt(0)
	v_and_b32_e32 v32, 0xffff, v3
	v_lshlrev_b64 v[8:9], s16, v[32:33]
	s_add_u32 s16, s16, 8
	s_addc_u32 s17, s17, 0
	v_or_b32_e32 v16, v8, v16
	s_cmp_lg_u32 s20, s18
	v_or_b32_e32 v17, v9, v17
	s_cbranch_scc1 .LBB3_153
	s_branch .LBB3_156
.LBB3_154:                              ;   in Loop: Header=BB3_143 Depth=1
                                        ; implicit-def: $vgpr16_vgpr17
                                        ; implicit-def: $sgpr21
	s_branch .LBB3_157
.LBB3_155:                              ;   in Loop: Header=BB3_143 Depth=1
	v_pk_mov_b32 v[16:17], 0, 0
.LBB3_156:                              ;   in Loop: Header=BB3_143 Depth=1
	s_mov_b32 s21, 0
	s_cbranch_execnz .LBB3_158
.LBB3_157:                              ;   in Loop: Header=BB3_143 Depth=1
	global_load_dwordx2 v[16:17], v33, s[4:5]
	s_add_i32 s21, s20, -8
	s_add_u32 s4, s4, 8
	s_addc_u32 s5, s5, 0
.LBB3_158:                              ;   in Loop: Header=BB3_143 Depth=1
	s_cmp_gt_u32 s21, 7
	s_cbranch_scc1 .LBB3_162
; %bb.159:                              ;   in Loop: Header=BB3_143 Depth=1
	s_cmp_eq_u32 s21, 0
	s_cbranch_scc1 .LBB3_163
; %bb.160:                              ;   in Loop: Header=BB3_143 Depth=1
	s_mov_b64 s[16:17], 0
	v_pk_mov_b32 v[18:19], 0, 0
	s_mov_b64 s[18:19], 0
.LBB3_161:                              ;   Parent Loop BB3_143 Depth=1
                                        ; =>  This Inner Loop Header: Depth=2
	s_add_u32 s22, s4, s18
	s_addc_u32 s23, s5, s19
	global_load_ubyte v3, v33, s[22:23]
	s_add_u32 s18, s18, 1
	s_addc_u32 s19, s19, 0
	s_waitcnt vmcnt(0)
	v_and_b32_e32 v32, 0xffff, v3
	v_lshlrev_b64 v[8:9], s16, v[32:33]
	s_add_u32 s16, s16, 8
	s_addc_u32 s17, s17, 0
	v_or_b32_e32 v18, v8, v18
	s_cmp_lg_u32 s21, s18
	v_or_b32_e32 v19, v9, v19
	s_cbranch_scc1 .LBB3_161
	s_branch .LBB3_164
.LBB3_162:                              ;   in Loop: Header=BB3_143 Depth=1
                                        ; implicit-def: $sgpr20
	s_branch .LBB3_165
.LBB3_163:                              ;   in Loop: Header=BB3_143 Depth=1
	v_pk_mov_b32 v[18:19], 0, 0
.LBB3_164:                              ;   in Loop: Header=BB3_143 Depth=1
	s_mov_b32 s20, 0
	s_cbranch_execnz .LBB3_166
.LBB3_165:                              ;   in Loop: Header=BB3_143 Depth=1
	global_load_dwordx2 v[18:19], v33, s[4:5]
	s_add_i32 s20, s21, -8
	s_add_u32 s4, s4, 8
	s_addc_u32 s5, s5, 0
.LBB3_166:                              ;   in Loop: Header=BB3_143 Depth=1
	s_cmp_gt_u32 s20, 7
	s_cbranch_scc1 .LBB3_170
; %bb.167:                              ;   in Loop: Header=BB3_143 Depth=1
	s_cmp_eq_u32 s20, 0
	s_cbranch_scc1 .LBB3_171
; %bb.168:                              ;   in Loop: Header=BB3_143 Depth=1
	s_mov_b64 s[16:17], 0
	v_pk_mov_b32 v[20:21], 0, 0
	s_mov_b64 s[18:19], 0
.LBB3_169:                              ;   Parent Loop BB3_143 Depth=1
                                        ; =>  This Inner Loop Header: Depth=2
	s_add_u32 s22, s4, s18
	s_addc_u32 s23, s5, s19
	global_load_ubyte v3, v33, s[22:23]
	s_add_u32 s18, s18, 1
	s_addc_u32 s19, s19, 0
	s_waitcnt vmcnt(0)
	v_and_b32_e32 v32, 0xffff, v3
	v_lshlrev_b64 v[8:9], s16, v[32:33]
	s_add_u32 s16, s16, 8
	s_addc_u32 s17, s17, 0
	v_or_b32_e32 v20, v8, v20
	s_cmp_lg_u32 s20, s18
	v_or_b32_e32 v21, v9, v21
	s_cbranch_scc1 .LBB3_169
	s_branch .LBB3_172
.LBB3_170:                              ;   in Loop: Header=BB3_143 Depth=1
                                        ; implicit-def: $vgpr20_vgpr21
                                        ; implicit-def: $sgpr21
	s_branch .LBB3_173
.LBB3_171:                              ;   in Loop: Header=BB3_143 Depth=1
	v_pk_mov_b32 v[20:21], 0, 0
.LBB3_172:                              ;   in Loop: Header=BB3_143 Depth=1
	s_mov_b32 s21, 0
	s_cbranch_execnz .LBB3_174
.LBB3_173:                              ;   in Loop: Header=BB3_143 Depth=1
	global_load_dwordx2 v[20:21], v33, s[4:5]
	s_add_i32 s21, s20, -8
	s_add_u32 s4, s4, 8
	s_addc_u32 s5, s5, 0
.LBB3_174:                              ;   in Loop: Header=BB3_143 Depth=1
	s_cmp_gt_u32 s21, 7
	s_cbranch_scc1 .LBB3_178
; %bb.175:                              ;   in Loop: Header=BB3_143 Depth=1
	s_cmp_eq_u32 s21, 0
	s_cbranch_scc1 .LBB3_179
; %bb.176:                              ;   in Loop: Header=BB3_143 Depth=1
	s_mov_b64 s[16:17], 0
	v_pk_mov_b32 v[22:23], 0, 0
	s_mov_b64 s[18:19], 0
.LBB3_177:                              ;   Parent Loop BB3_143 Depth=1
                                        ; =>  This Inner Loop Header: Depth=2
	s_add_u32 s22, s4, s18
	s_addc_u32 s23, s5, s19
	global_load_ubyte v3, v33, s[22:23]
	s_add_u32 s18, s18, 1
	s_addc_u32 s19, s19, 0
	s_waitcnt vmcnt(0)
	v_and_b32_e32 v32, 0xffff, v3
	v_lshlrev_b64 v[8:9], s16, v[32:33]
	s_add_u32 s16, s16, 8
	s_addc_u32 s17, s17, 0
	v_or_b32_e32 v22, v8, v22
	s_cmp_lg_u32 s21, s18
	v_or_b32_e32 v23, v9, v23
	s_cbranch_scc1 .LBB3_177
	s_branch .LBB3_180
.LBB3_178:                              ;   in Loop: Header=BB3_143 Depth=1
                                        ; implicit-def: $sgpr20
	s_branch .LBB3_181
.LBB3_179:                              ;   in Loop: Header=BB3_143 Depth=1
	v_pk_mov_b32 v[22:23], 0, 0
.LBB3_180:                              ;   in Loop: Header=BB3_143 Depth=1
	s_mov_b32 s20, 0
	s_cbranch_execnz .LBB3_182
.LBB3_181:                              ;   in Loop: Header=BB3_143 Depth=1
	global_load_dwordx2 v[22:23], v33, s[4:5]
	s_add_i32 s20, s21, -8
	s_add_u32 s4, s4, 8
	s_addc_u32 s5, s5, 0
.LBB3_182:                              ;   in Loop: Header=BB3_143 Depth=1
	s_cmp_gt_u32 s20, 7
	s_cbranch_scc1 .LBB3_186
; %bb.183:                              ;   in Loop: Header=BB3_143 Depth=1
	s_cmp_eq_u32 s20, 0
	s_cbranch_scc1 .LBB3_187
; %bb.184:                              ;   in Loop: Header=BB3_143 Depth=1
	s_mov_b64 s[16:17], 0
	v_pk_mov_b32 v[24:25], 0, 0
	s_mov_b64 s[18:19], 0
.LBB3_185:                              ;   Parent Loop BB3_143 Depth=1
                                        ; =>  This Inner Loop Header: Depth=2
	s_add_u32 s22, s4, s18
	s_addc_u32 s23, s5, s19
	global_load_ubyte v3, v33, s[22:23]
	s_add_u32 s18, s18, 1
	s_addc_u32 s19, s19, 0
	s_waitcnt vmcnt(0)
	v_and_b32_e32 v32, 0xffff, v3
	v_lshlrev_b64 v[8:9], s16, v[32:33]
	s_add_u32 s16, s16, 8
	s_addc_u32 s17, s17, 0
	v_or_b32_e32 v24, v8, v24
	s_cmp_lg_u32 s20, s18
	v_or_b32_e32 v25, v9, v25
	s_cbranch_scc1 .LBB3_185
	s_branch .LBB3_188
.LBB3_186:                              ;   in Loop: Header=BB3_143 Depth=1
                                        ; implicit-def: $vgpr24_vgpr25
                                        ; implicit-def: $sgpr21
	s_branch .LBB3_189
.LBB3_187:                              ;   in Loop: Header=BB3_143 Depth=1
	v_pk_mov_b32 v[24:25], 0, 0
.LBB3_188:                              ;   in Loop: Header=BB3_143 Depth=1
	s_mov_b32 s21, 0
	s_cbranch_execnz .LBB3_190
.LBB3_189:                              ;   in Loop: Header=BB3_143 Depth=1
	global_load_dwordx2 v[24:25], v33, s[4:5]
	s_add_i32 s21, s20, -8
	s_add_u32 s4, s4, 8
	s_addc_u32 s5, s5, 0
.LBB3_190:                              ;   in Loop: Header=BB3_143 Depth=1
	s_cmp_gt_u32 s21, 7
	s_cbranch_scc1 .LBB3_194
; %bb.191:                              ;   in Loop: Header=BB3_143 Depth=1
	s_cmp_eq_u32 s21, 0
	s_cbranch_scc1 .LBB3_195
; %bb.192:                              ;   in Loop: Header=BB3_143 Depth=1
	s_mov_b64 s[16:17], 0
	v_pk_mov_b32 v[26:27], 0, 0
	s_mov_b64 s[18:19], s[4:5]
.LBB3_193:                              ;   Parent Loop BB3_143 Depth=1
                                        ; =>  This Inner Loop Header: Depth=2
	global_load_ubyte v3, v33, s[18:19]
	s_add_i32 s21, s21, -1
	s_waitcnt vmcnt(0)
	v_and_b32_e32 v32, 0xffff, v3
	v_lshlrev_b64 v[8:9], s16, v[32:33]
	s_add_u32 s16, s16, 8
	s_addc_u32 s17, s17, 0
	s_add_u32 s18, s18, 1
	s_addc_u32 s19, s19, 0
	v_or_b32_e32 v26, v8, v26
	s_cmp_lg_u32 s21, 0
	v_or_b32_e32 v27, v9, v27
	s_cbranch_scc1 .LBB3_193
	s_branch .LBB3_196
.LBB3_194:                              ;   in Loop: Header=BB3_143 Depth=1
	s_branch .LBB3_197
.LBB3_195:                              ;   in Loop: Header=BB3_143 Depth=1
	v_pk_mov_b32 v[26:27], 0, 0
.LBB3_196:                              ;   in Loop: Header=BB3_143 Depth=1
	s_cbranch_execnz .LBB3_198
.LBB3_197:                              ;   in Loop: Header=BB3_143 Depth=1
	global_load_dwordx2 v[26:27], v33, s[4:5]
.LBB3_198:                              ;   in Loop: Header=BB3_143 Depth=1
	v_readfirstlane_b32 s4, v37
	v_cmp_eq_u32_e64 s[4:5], s4, v37
	s_waitcnt vmcnt(0)
	v_pk_mov_b32 v[8:9], 0, 0
	s_and_saveexec_b64 s[16:17], s[4:5]
	s_cbranch_execz .LBB3_204
; %bb.199:                              ;   in Loop: Header=BB3_143 Depth=1
	global_load_dwordx2 v[30:31], v33, s[10:11] offset:24 glc
	s_waitcnt vmcnt(0)
	buffer_invl2
	buffer_wbinvl1_vol
	global_load_dwordx2 v[8:9], v33, s[10:11] offset:40
	global_load_dwordx2 v[12:13], v33, s[10:11]
	s_waitcnt vmcnt(1)
	v_and_b32_e32 v3, v8, v30
	v_and_b32_e32 v8, v9, v31
	v_mul_lo_u32 v8, v8, 24
	v_mul_hi_u32 v9, v3, 24
	v_mul_lo_u32 v3, v3, 24
	v_add_u32_e32 v9, v9, v8
	s_waitcnt vmcnt(0)
	v_add_co_u32_e32 v8, vcc, v12, v3
	v_addc_co_u32_e32 v9, vcc, v13, v9, vcc
	global_load_dwordx2 v[28:29], v[8:9], off glc
	s_waitcnt vmcnt(0)
	global_atomic_cmpswap_x2 v[8:9], v33, v[28:31], s[10:11] offset:24 glc
	s_waitcnt vmcnt(0)
	buffer_invl2
	buffer_wbinvl1_vol
	v_cmp_ne_u64_e32 vcc, v[8:9], v[30:31]
	s_and_saveexec_b64 s[18:19], vcc
	s_cbranch_execz .LBB3_203
; %bb.200:                              ;   in Loop: Header=BB3_143 Depth=1
	s_mov_b64 s[20:21], 0
.LBB3_201:                              ;   Parent Loop BB3_143 Depth=1
                                        ; =>  This Inner Loop Header: Depth=2
	s_sleep 1
	global_load_dwordx2 v[12:13], v33, s[10:11] offset:40
	global_load_dwordx2 v[28:29], v33, s[10:11]
	v_pk_mov_b32 v[30:31], v[8:9], v[8:9] op_sel:[0,1]
	s_waitcnt vmcnt(1)
	v_and_b32_e32 v8, v12, v30
	s_waitcnt vmcnt(0)
	v_mad_u64_u32 v[8:9], s[22:23], v8, 24, v[28:29]
	v_and_b32_e32 v3, v13, v31
	v_mov_b32_e32 v12, v9
	v_mad_u64_u32 v[12:13], s[22:23], v3, 24, v[12:13]
	v_mov_b32_e32 v9, v12
	global_load_dwordx2 v[28:29], v[8:9], off glc
	s_waitcnt vmcnt(0)
	global_atomic_cmpswap_x2 v[8:9], v33, v[28:31], s[10:11] offset:24 glc
	s_waitcnt vmcnt(0)
	buffer_invl2
	buffer_wbinvl1_vol
	v_cmp_eq_u64_e32 vcc, v[8:9], v[30:31]
	s_or_b64 s[20:21], vcc, s[20:21]
	s_andn2_b64 exec, exec, s[20:21]
	s_cbranch_execnz .LBB3_201
; %bb.202:                              ;   in Loop: Header=BB3_143 Depth=1
	s_or_b64 exec, exec, s[20:21]
.LBB3_203:                              ;   in Loop: Header=BB3_143 Depth=1
	s_or_b64 exec, exec, s[18:19]
.LBB3_204:                              ;   in Loop: Header=BB3_143 Depth=1
	s_or_b64 exec, exec, s[16:17]
	global_load_dwordx2 v[12:13], v33, s[10:11] offset:40
	global_load_dwordx4 v[28:31], v33, s[10:11]
	v_readfirstlane_b32 s16, v8
	v_readfirstlane_b32 s17, v9
	s_mov_b64 s[18:19], exec
	s_waitcnt vmcnt(1)
	v_readfirstlane_b32 s20, v12
	v_readfirstlane_b32 s21, v13
	s_and_b64 s[20:21], s[16:17], s[20:21]
	s_mul_i32 s22, s21, 24
	s_mul_hi_u32 s23, s20, 24
	s_mul_i32 s24, s20, 24
	s_add_i32 s22, s23, s22
	v_mov_b32_e32 v3, s22
	s_waitcnt vmcnt(0)
	v_add_co_u32_e32 v34, vcc, s24, v28
	v_addc_co_u32_e32 v35, vcc, v29, v3, vcc
	s_and_saveexec_b64 s[22:23], s[4:5]
	s_cbranch_execz .LBB3_206
; %bb.205:                              ;   in Loop: Header=BB3_143 Depth=1
	v_pk_mov_b32 v[8:9], s[18:19], s[18:19] op_sel:[0,1]
	global_store_dwordx4 v[34:35], v[8:11], off offset:8
.LBB3_206:                              ;   in Loop: Header=BB3_143 Depth=1
	s_or_b64 exec, exec, s[22:23]
	s_lshl_b64 s[18:19], s[20:21], 12
	v_mov_b32_e32 v3, s19
	v_add_co_u32_e32 v30, vcc, s18, v30
	v_addc_co_u32_e32 v3, vcc, v31, v3, vcc
	v_or_b32_e32 v9, v6, v2
	v_cmp_gt_u64_e64 vcc, s[12:13], 56
	s_lshl_b32 s18, s14, 2
	v_cndmask_b32_e32 v6, v9, v6, vcc
	s_add_i32 s18, s18, 28
	v_or_b32_e32 v8, 0, v7
	s_and_b32 s18, s18, 0x1e0
	v_and_b32_e32 v6, 0xffffff1f, v6
	v_cndmask_b32_e32 v13, v8, v7, vcc
	v_or_b32_e32 v12, s18, v6
	v_readfirstlane_b32 s18, v30
	v_readfirstlane_b32 s19, v3
	s_nop 4
	global_store_dwordx4 v36, v[12:15], s[18:19]
	global_store_dwordx4 v36, v[16:19], s[18:19] offset:16
	global_store_dwordx4 v36, v[20:23], s[18:19] offset:32
	;; [unrolled: 1-line block ×3, first 2 shown]
	s_and_saveexec_b64 s[18:19], s[4:5]
	s_cbranch_execz .LBB3_214
; %bb.207:                              ;   in Loop: Header=BB3_143 Depth=1
	global_load_dwordx2 v[16:17], v33, s[10:11] offset:32 glc
	global_load_dwordx2 v[6:7], v33, s[10:11] offset:40
	v_mov_b32_e32 v14, s16
	v_mov_b32_e32 v15, s17
	s_waitcnt vmcnt(0)
	v_readfirstlane_b32 s20, v6
	v_readfirstlane_b32 s21, v7
	s_and_b64 s[20:21], s[20:21], s[16:17]
	s_mul_i32 s21, s21, 24
	s_mul_hi_u32 s22, s20, 24
	s_mul_i32 s20, s20, 24
	s_add_i32 s21, s22, s21
	v_mov_b32_e32 v6, s21
	v_add_co_u32_e32 v12, vcc, s20, v28
	v_addc_co_u32_e32 v13, vcc, v29, v6, vcc
	global_store_dwordx2 v[12:13], v[16:17], off
	buffer_wbl2
	s_waitcnt vmcnt(0)
	global_atomic_cmpswap_x2 v[8:9], v33, v[14:17], s[10:11] offset:32 glc
	s_waitcnt vmcnt(0)
	v_cmp_ne_u64_e32 vcc, v[8:9], v[16:17]
	s_and_saveexec_b64 s[20:21], vcc
	s_cbranch_execz .LBB3_210
; %bb.208:                              ;   in Loop: Header=BB3_143 Depth=1
	s_mov_b64 s[22:23], 0
.LBB3_209:                              ;   Parent Loop BB3_143 Depth=1
                                        ; =>  This Inner Loop Header: Depth=2
	s_sleep 1
	global_store_dwordx2 v[12:13], v[8:9], off
	v_mov_b32_e32 v6, s16
	v_mov_b32_e32 v7, s17
	buffer_wbl2
	s_waitcnt vmcnt(0)
	global_atomic_cmpswap_x2 v[6:7], v33, v[6:9], s[10:11] offset:32 glc
	s_waitcnt vmcnt(0)
	v_cmp_eq_u64_e32 vcc, v[6:7], v[8:9]
	s_or_b64 s[22:23], vcc, s[22:23]
	v_pk_mov_b32 v[8:9], v[6:7], v[6:7] op_sel:[0,1]
	s_andn2_b64 exec, exec, s[22:23]
	s_cbranch_execnz .LBB3_209
.LBB3_210:                              ;   in Loop: Header=BB3_143 Depth=1
	s_or_b64 exec, exec, s[20:21]
	global_load_dwordx2 v[6:7], v33, s[10:11] offset:16
	s_mov_b64 s[22:23], exec
	v_mbcnt_lo_u32_b32 v8, s22, 0
	v_mbcnt_hi_u32_b32 v8, s23, v8
	v_cmp_eq_u32_e32 vcc, 0, v8
	s_and_saveexec_b64 s[20:21], vcc
	s_cbranch_execz .LBB3_212
; %bb.211:                              ;   in Loop: Header=BB3_143 Depth=1
	s_bcnt1_i32_b64 s22, s[22:23]
	v_mov_b32_e32 v32, s22
	buffer_wbl2
	s_waitcnt vmcnt(0)
	global_atomic_add_x2 v[6:7], v[32:33], off offset:8
.LBB3_212:                              ;   in Loop: Header=BB3_143 Depth=1
	s_or_b64 exec, exec, s[20:21]
	s_waitcnt vmcnt(0)
	global_load_dwordx2 v[8:9], v[6:7], off offset:16
	s_waitcnt vmcnt(0)
	v_cmp_eq_u64_e32 vcc, 0, v[8:9]
	s_cbranch_vccnz .LBB3_214
; %bb.213:                              ;   in Loop: Header=BB3_143 Depth=1
	global_load_dword v32, v[6:7], off offset:24
	s_waitcnt vmcnt(0)
	v_and_b32_e32 v6, 0xffffff, v32
	v_readfirstlane_b32 m0, v6
	buffer_wbl2
	global_store_dwordx2 v[8:9], v[32:33], off
	s_sendmsg sendmsg(MSG_INTERRUPT)
.LBB3_214:                              ;   in Loop: Header=BB3_143 Depth=1
	s_or_b64 exec, exec, s[18:19]
	v_add_co_u32_e32 v6, vcc, v30, v36
	v_addc_co_u32_e32 v7, vcc, 0, v3, vcc
	s_branch .LBB3_218
.LBB3_215:                              ;   in Loop: Header=BB3_218 Depth=2
	s_or_b64 exec, exec, s[18:19]
	v_readfirstlane_b32 s18, v3
	s_cmp_eq_u32 s18, 0
	s_cbranch_scc1 .LBB3_217
; %bb.216:                              ;   in Loop: Header=BB3_218 Depth=2
	s_sleep 1
	s_cbranch_execnz .LBB3_218
	s_branch .LBB3_220
.LBB3_217:                              ;   in Loop: Header=BB3_143 Depth=1
	s_branch .LBB3_220
.LBB3_218:                              ;   Parent Loop BB3_143 Depth=1
                                        ; =>  This Inner Loop Header: Depth=2
	v_mov_b32_e32 v3, 1
	s_and_saveexec_b64 s[18:19], s[4:5]
	s_cbranch_execz .LBB3_215
; %bb.219:                              ;   in Loop: Header=BB3_218 Depth=2
	global_load_dword v3, v[34:35], off offset:20 glc
	s_waitcnt vmcnt(0)
	buffer_invl2
	buffer_wbinvl1_vol
	v_and_b32_e32 v3, 1, v3
	s_branch .LBB3_215
.LBB3_220:                              ;   in Loop: Header=BB3_143 Depth=1
	global_load_dwordx4 v[6:9], v[6:7], off
	s_and_saveexec_b64 s[18:19], s[4:5]
	s_cbranch_execz .LBB3_142
; %bb.221:                              ;   in Loop: Header=BB3_143 Depth=1
	global_load_dwordx2 v[8:9], v33, s[10:11] offset:40
	global_load_dwordx2 v[16:17], v33, s[10:11] offset:24 glc
	global_load_dwordx2 v[18:19], v33, s[10:11]
	v_mov_b32_e32 v3, s17
	s_waitcnt vmcnt(2)
	v_add_co_u32_e32 v15, vcc, 1, v8
	v_addc_co_u32_e32 v20, vcc, 0, v9, vcc
	v_add_co_u32_e32 v12, vcc, s16, v15
	v_addc_co_u32_e32 v13, vcc, v20, v3, vcc
	v_cmp_eq_u64_e32 vcc, 0, v[12:13]
	v_cndmask_b32_e32 v13, v13, v20, vcc
	v_cndmask_b32_e32 v12, v12, v15, vcc
	v_and_b32_e32 v3, v13, v9
	v_and_b32_e32 v8, v12, v8
	v_mul_lo_u32 v3, v3, 24
	v_mul_hi_u32 v9, v8, 24
	v_mul_lo_u32 v8, v8, 24
	v_add_u32_e32 v3, v9, v3
	s_waitcnt vmcnt(0)
	v_add_co_u32_e32 v8, vcc, v18, v8
	v_addc_co_u32_e32 v9, vcc, v19, v3, vcc
	v_mov_b32_e32 v14, v16
	global_store_dwordx2 v[8:9], v[16:17], off
	v_mov_b32_e32 v15, v17
	buffer_wbl2
	s_waitcnt vmcnt(0)
	global_atomic_cmpswap_x2 v[14:15], v33, v[12:15], s[10:11] offset:24 glc
	s_waitcnt vmcnt(0)
	v_cmp_ne_u64_e32 vcc, v[14:15], v[16:17]
	s_and_b64 exec, exec, vcc
	s_cbranch_execz .LBB3_142
; %bb.222:                              ;   in Loop: Header=BB3_143 Depth=1
	s_mov_b64 s[4:5], 0
.LBB3_223:                              ;   Parent Loop BB3_143 Depth=1
                                        ; =>  This Inner Loop Header: Depth=2
	s_sleep 1
	global_store_dwordx2 v[8:9], v[14:15], off
	buffer_wbl2
	s_waitcnt vmcnt(0)
	global_atomic_cmpswap_x2 v[16:17], v33, v[12:15], s[10:11] offset:24 glc
	s_waitcnt vmcnt(0)
	v_cmp_eq_u64_e32 vcc, v[16:17], v[14:15]
	s_or_b64 s[4:5], vcc, s[4:5]
	v_pk_mov_b32 v[14:15], v[16:17], v[16:17] op_sel:[0,1]
	s_andn2_b64 exec, exec, s[4:5]
	s_cbranch_execnz .LBB3_223
	s_branch .LBB3_142
.LBB3_224:
                                        ; implicit-def: $vgpr6_vgpr7
	s_cbranch_execnz .LBB3_226
	s_branch .LBB3_252
.LBB3_225:
	s_branch .LBB3_252
.LBB3_226:
	v_readfirstlane_b32 s4, v37
	v_cmp_eq_u32_e64 s[4:5], s4, v37
	v_pk_mov_b32 v[10:11], 0, 0
	s_and_saveexec_b64 s[6:7], s[4:5]
	s_cbranch_execz .LBB3_232
; %bb.227:
	s_waitcnt vmcnt(0)
	v_mov_b32_e32 v2, 0
	global_load_dwordx2 v[8:9], v2, s[10:11] offset:24 glc
	s_waitcnt vmcnt(0)
	buffer_invl2
	buffer_wbinvl1_vol
	global_load_dwordx2 v[6:7], v2, s[10:11] offset:40
	global_load_dwordx2 v[10:11], v2, s[10:11]
	s_waitcnt vmcnt(1)
	v_and_b32_e32 v3, v6, v8
	v_and_b32_e32 v6, v7, v9
	v_mul_lo_u32 v6, v6, 24
	v_mul_hi_u32 v7, v3, 24
	v_mul_lo_u32 v3, v3, 24
	v_add_u32_e32 v7, v7, v6
	s_waitcnt vmcnt(0)
	v_add_co_u32_e32 v6, vcc, v10, v3
	v_addc_co_u32_e32 v7, vcc, v11, v7, vcc
	global_load_dwordx2 v[6:7], v[6:7], off glc
	s_waitcnt vmcnt(0)
	global_atomic_cmpswap_x2 v[10:11], v2, v[6:9], s[10:11] offset:24 glc
	s_waitcnt vmcnt(0)
	buffer_invl2
	buffer_wbinvl1_vol
	v_cmp_ne_u64_e32 vcc, v[10:11], v[8:9]
	s_and_saveexec_b64 s[12:13], vcc
	s_cbranch_execz .LBB3_231
; %bb.228:
	s_mov_b64 s[14:15], 0
.LBB3_229:                              ; =>This Inner Loop Header: Depth=1
	s_sleep 1
	global_load_dwordx2 v[6:7], v2, s[10:11] offset:40
	global_load_dwordx2 v[12:13], v2, s[10:11]
	v_pk_mov_b32 v[8:9], v[10:11], v[10:11] op_sel:[0,1]
	s_waitcnt vmcnt(1)
	v_and_b32_e32 v6, v6, v8
	v_and_b32_e32 v3, v7, v9
	s_waitcnt vmcnt(0)
	v_mad_u64_u32 v[6:7], s[16:17], v6, 24, v[12:13]
	v_mov_b32_e32 v10, v7
	v_mad_u64_u32 v[10:11], s[16:17], v3, 24, v[10:11]
	v_mov_b32_e32 v7, v10
	global_load_dwordx2 v[6:7], v[6:7], off glc
	s_waitcnt vmcnt(0)
	global_atomic_cmpswap_x2 v[10:11], v2, v[6:9], s[10:11] offset:24 glc
	s_waitcnt vmcnt(0)
	buffer_invl2
	buffer_wbinvl1_vol
	v_cmp_eq_u64_e32 vcc, v[10:11], v[8:9]
	s_or_b64 s[14:15], vcc, s[14:15]
	s_andn2_b64 exec, exec, s[14:15]
	s_cbranch_execnz .LBB3_229
; %bb.230:
	s_or_b64 exec, exec, s[14:15]
.LBB3_231:
	s_or_b64 exec, exec, s[12:13]
.LBB3_232:
	s_or_b64 exec, exec, s[6:7]
	s_waitcnt vmcnt(0)
	v_mov_b32_e32 v2, 0
	global_load_dwordx2 v[12:13], v2, s[10:11] offset:40
	global_load_dwordx4 v[6:9], v2, s[10:11]
	v_readfirstlane_b32 s6, v10
	v_readfirstlane_b32 s7, v11
	s_mov_b64 s[12:13], exec
	s_waitcnt vmcnt(1)
	v_readfirstlane_b32 s14, v12
	v_readfirstlane_b32 s15, v13
	s_and_b64 s[14:15], s[6:7], s[14:15]
	s_mul_i32 s16, s15, 24
	s_mul_hi_u32 s17, s14, 24
	s_mul_i32 s18, s14, 24
	s_add_i32 s16, s17, s16
	v_mov_b32_e32 v3, s16
	s_waitcnt vmcnt(0)
	v_add_co_u32_e32 v10, vcc, s18, v6
	v_addc_co_u32_e32 v11, vcc, v7, v3, vcc
	s_and_saveexec_b64 s[16:17], s[4:5]
	s_cbranch_execz .LBB3_234
; %bb.233:
	v_pk_mov_b32 v[12:13], s[12:13], s[12:13] op_sel:[0,1]
	v_mov_b32_e32 v14, 2
	v_mov_b32_e32 v15, 1
	global_store_dwordx4 v[10:11], v[12:15], off offset:8
.LBB3_234:
	s_or_b64 exec, exec, s[16:17]
	s_lshl_b64 s[12:13], s[14:15], 12
	v_mov_b32_e32 v3, s13
	v_add_co_u32_e32 v12, vcc, s12, v8
	s_movk_i32 s12, 0xff1f
	v_addc_co_u32_e32 v13, vcc, v9, v3, vcc
	v_and_or_b32 v0, v0, s12, 32
	s_mov_b32 s12, 0
	v_mov_b32_e32 v3, v2
	v_readfirstlane_b32 s16, v12
	v_readfirstlane_b32 s17, v13
	s_mov_b32 s13, s12
	v_add_co_u32_e32 v8, vcc, v12, v36
	s_mov_b32 s14, s12
	s_mov_b32 s15, s12
	s_nop 0
	global_store_dwordx4 v36, v[0:3], s[16:17]
	v_addc_co_u32_e32 v9, vcc, 0, v13, vcc
	v_pk_mov_b32 v[0:1], s[12:13], s[12:13] op_sel:[0,1]
	v_pk_mov_b32 v[2:3], s[14:15], s[14:15] op_sel:[0,1]
	global_store_dwordx4 v36, v[0:3], s[16:17] offset:16
	global_store_dwordx4 v36, v[0:3], s[16:17] offset:32
	;; [unrolled: 1-line block ×3, first 2 shown]
	s_and_saveexec_b64 s[12:13], s[4:5]
	s_cbranch_execz .LBB3_242
; %bb.235:
	v_mov_b32_e32 v12, 0
	global_load_dwordx2 v[16:17], v12, s[10:11] offset:32 glc
	global_load_dwordx2 v[0:1], v12, s[10:11] offset:40
	v_mov_b32_e32 v14, s6
	v_mov_b32_e32 v15, s7
	s_waitcnt vmcnt(0)
	v_readfirstlane_b32 s14, v0
	v_readfirstlane_b32 s15, v1
	s_and_b64 s[14:15], s[14:15], s[6:7]
	s_mul_i32 s15, s15, 24
	s_mul_hi_u32 s16, s14, 24
	s_mul_i32 s14, s14, 24
	s_add_i32 s15, s16, s15
	v_mov_b32_e32 v0, s15
	v_add_co_u32_e32 v6, vcc, s14, v6
	v_addc_co_u32_e32 v7, vcc, v7, v0, vcc
	global_store_dwordx2 v[6:7], v[16:17], off
	buffer_wbl2
	s_waitcnt vmcnt(0)
	global_atomic_cmpswap_x2 v[2:3], v12, v[14:17], s[10:11] offset:32 glc
	s_waitcnt vmcnt(0)
	v_cmp_ne_u64_e32 vcc, v[2:3], v[16:17]
	s_and_saveexec_b64 s[14:15], vcc
	s_cbranch_execz .LBB3_238
; %bb.236:
	s_mov_b64 s[16:17], 0
.LBB3_237:                              ; =>This Inner Loop Header: Depth=1
	s_sleep 1
	global_store_dwordx2 v[6:7], v[2:3], off
	v_mov_b32_e32 v0, s6
	v_mov_b32_e32 v1, s7
	buffer_wbl2
	s_waitcnt vmcnt(0)
	global_atomic_cmpswap_x2 v[0:1], v12, v[0:3], s[10:11] offset:32 glc
	s_waitcnt vmcnt(0)
	v_cmp_eq_u64_e32 vcc, v[0:1], v[2:3]
	s_or_b64 s[16:17], vcc, s[16:17]
	v_pk_mov_b32 v[2:3], v[0:1], v[0:1] op_sel:[0,1]
	s_andn2_b64 exec, exec, s[16:17]
	s_cbranch_execnz .LBB3_237
.LBB3_238:
	s_or_b64 exec, exec, s[14:15]
	v_mov_b32_e32 v3, 0
	global_load_dwordx2 v[0:1], v3, s[10:11] offset:16
	s_mov_b64 s[14:15], exec
	v_mbcnt_lo_u32_b32 v2, s14, 0
	v_mbcnt_hi_u32_b32 v2, s15, v2
	v_cmp_eq_u32_e32 vcc, 0, v2
	s_and_saveexec_b64 s[16:17], vcc
	s_cbranch_execz .LBB3_240
; %bb.239:
	s_bcnt1_i32_b64 s14, s[14:15]
	v_mov_b32_e32 v2, s14
	buffer_wbl2
	s_waitcnt vmcnt(0)
	global_atomic_add_x2 v[0:1], v[2:3], off offset:8
.LBB3_240:
	s_or_b64 exec, exec, s[16:17]
	s_waitcnt vmcnt(0)
	global_load_dwordx2 v[2:3], v[0:1], off offset:16
	s_waitcnt vmcnt(0)
	v_cmp_eq_u64_e32 vcc, 0, v[2:3]
	s_cbranch_vccnz .LBB3_242
; %bb.241:
	global_load_dword v0, v[0:1], off offset:24
	v_mov_b32_e32 v1, 0
	buffer_wbl2
	s_waitcnt vmcnt(0)
	global_store_dwordx2 v[2:3], v[0:1], off
	v_and_b32_e32 v0, 0xffffff, v0
	v_readfirstlane_b32 m0, v0
	s_sendmsg sendmsg(MSG_INTERRUPT)
.LBB3_242:
	s_or_b64 exec, exec, s[12:13]
	s_branch .LBB3_246
.LBB3_243:                              ;   in Loop: Header=BB3_246 Depth=1
	s_or_b64 exec, exec, s[12:13]
	v_readfirstlane_b32 s12, v0
	s_cmp_eq_u32 s12, 0
	s_cbranch_scc1 .LBB3_245
; %bb.244:                              ;   in Loop: Header=BB3_246 Depth=1
	s_sleep 1
	s_cbranch_execnz .LBB3_246
	s_branch .LBB3_248
.LBB3_245:
	s_branch .LBB3_248
.LBB3_246:                              ; =>This Inner Loop Header: Depth=1
	v_mov_b32_e32 v0, 1
	s_and_saveexec_b64 s[12:13], s[4:5]
	s_cbranch_execz .LBB3_243
; %bb.247:                              ;   in Loop: Header=BB3_246 Depth=1
	global_load_dword v0, v[10:11], off offset:20 glc
	s_waitcnt vmcnt(0)
	buffer_invl2
	buffer_wbinvl1_vol
	v_and_b32_e32 v0, 1, v0
	s_branch .LBB3_243
.LBB3_248:
	global_load_dwordx2 v[6:7], v[8:9], off
	s_and_saveexec_b64 s[12:13], s[4:5]
	s_cbranch_execz .LBB3_251
; %bb.249:
	v_mov_b32_e32 v10, 0
	global_load_dwordx2 v[8:9], v10, s[10:11] offset:40
	global_load_dwordx2 v[12:13], v10, s[10:11] offset:24 glc
	global_load_dwordx2 v[14:15], v10, s[10:11]
	v_mov_b32_e32 v1, s7
	s_mov_b64 s[4:5], 0
	s_waitcnt vmcnt(2)
	v_add_co_u32_e32 v3, vcc, 1, v8
	v_addc_co_u32_e32 v11, vcc, 0, v9, vcc
	v_add_co_u32_e32 v0, vcc, s6, v3
	v_addc_co_u32_e32 v1, vcc, v11, v1, vcc
	v_cmp_eq_u64_e32 vcc, 0, v[0:1]
	v_cndmask_b32_e32 v1, v1, v11, vcc
	v_cndmask_b32_e32 v0, v0, v3, vcc
	v_and_b32_e32 v3, v1, v9
	v_and_b32_e32 v8, v0, v8
	v_mul_lo_u32 v3, v3, 24
	v_mul_hi_u32 v9, v8, 24
	v_mul_lo_u32 v8, v8, 24
	v_add_u32_e32 v3, v9, v3
	s_waitcnt vmcnt(0)
	v_add_co_u32_e32 v8, vcc, v14, v8
	v_addc_co_u32_e32 v9, vcc, v15, v3, vcc
	v_mov_b32_e32 v2, v12
	global_store_dwordx2 v[8:9], v[12:13], off
	v_mov_b32_e32 v3, v13
	buffer_wbl2
	s_waitcnt vmcnt(0)
	global_atomic_cmpswap_x2 v[2:3], v10, v[0:3], s[10:11] offset:24 glc
	s_waitcnt vmcnt(0)
	v_cmp_ne_u64_e32 vcc, v[2:3], v[12:13]
	s_and_b64 exec, exec, vcc
	s_cbranch_execz .LBB3_251
.LBB3_250:                              ; =>This Inner Loop Header: Depth=1
	s_sleep 1
	global_store_dwordx2 v[8:9], v[2:3], off
	buffer_wbl2
	s_waitcnt vmcnt(0)
	global_atomic_cmpswap_x2 v[12:13], v10, v[0:3], s[10:11] offset:24 glc
	s_waitcnt vmcnt(0)
	v_cmp_eq_u64_e32 vcc, v[12:13], v[2:3]
	s_or_b64 s[4:5], vcc, s[4:5]
	v_pk_mov_b32 v[2:3], v[12:13], v[12:13] op_sel:[0,1]
	s_andn2_b64 exec, exec, s[4:5]
	s_cbranch_execnz .LBB3_250
.LBB3_251:
	s_or_b64 exec, exec, s[12:13]
.LBB3_252:
	v_readfirstlane_b32 s4, v37
	v_cmp_eq_u32_e64 s[4:5], s4, v37
	v_pk_mov_b32 v[10:11], 0, 0
	s_and_saveexec_b64 s[6:7], s[4:5]
	s_cbranch_execz .LBB3_258
; %bb.253:
	s_waitcnt vmcnt(0)
	v_mov_b32_e32 v0, 0
	global_load_dwordx2 v[12:13], v0, s[10:11] offset:24 glc
	s_waitcnt vmcnt(0)
	buffer_invl2
	buffer_wbinvl1_vol
	global_load_dwordx2 v[2:3], v0, s[10:11] offset:40
	global_load_dwordx2 v[8:9], v0, s[10:11]
	s_waitcnt vmcnt(1)
	v_and_b32_e32 v1, v2, v12
	v_and_b32_e32 v2, v3, v13
	v_mul_lo_u32 v2, v2, 24
	v_mul_hi_u32 v3, v1, 24
	v_mul_lo_u32 v1, v1, 24
	v_add_u32_e32 v3, v3, v2
	s_waitcnt vmcnt(0)
	v_add_co_u32_e32 v2, vcc, v8, v1
	v_addc_co_u32_e32 v3, vcc, v9, v3, vcc
	global_load_dwordx2 v[10:11], v[2:3], off glc
	s_waitcnt vmcnt(0)
	global_atomic_cmpswap_x2 v[10:11], v0, v[10:13], s[10:11] offset:24 glc
	s_waitcnt vmcnt(0)
	buffer_invl2
	buffer_wbinvl1_vol
	v_cmp_ne_u64_e32 vcc, v[10:11], v[12:13]
	s_and_saveexec_b64 s[12:13], vcc
	s_cbranch_execz .LBB3_257
; %bb.254:
	s_mov_b64 s[14:15], 0
.LBB3_255:                              ; =>This Inner Loop Header: Depth=1
	s_sleep 1
	global_load_dwordx2 v[2:3], v0, s[10:11] offset:40
	global_load_dwordx2 v[8:9], v0, s[10:11]
	v_pk_mov_b32 v[12:13], v[10:11], v[10:11] op_sel:[0,1]
	s_waitcnt vmcnt(1)
	v_and_b32_e32 v2, v2, v12
	v_and_b32_e32 v1, v3, v13
	s_waitcnt vmcnt(0)
	v_mad_u64_u32 v[2:3], s[16:17], v2, 24, v[8:9]
	v_mov_b32_e32 v8, v3
	v_mad_u64_u32 v[8:9], s[16:17], v1, 24, v[8:9]
	v_mov_b32_e32 v3, v8
	global_load_dwordx2 v[10:11], v[2:3], off glc
	s_waitcnt vmcnt(0)
	global_atomic_cmpswap_x2 v[10:11], v0, v[10:13], s[10:11] offset:24 glc
	s_waitcnt vmcnt(0)
	buffer_invl2
	buffer_wbinvl1_vol
	v_cmp_eq_u64_e32 vcc, v[10:11], v[12:13]
	s_or_b64 s[14:15], vcc, s[14:15]
	s_andn2_b64 exec, exec, s[14:15]
	s_cbranch_execnz .LBB3_255
; %bb.256:
	s_or_b64 exec, exec, s[14:15]
.LBB3_257:
	s_or_b64 exec, exec, s[12:13]
.LBB3_258:
	s_or_b64 exec, exec, s[6:7]
	s_waitcnt vmcnt(0)
	v_mov_b32_e32 v9, 0
	global_load_dwordx2 v[12:13], v9, s[10:11] offset:40
	global_load_dwordx4 v[0:3], v9, s[10:11]
	v_readfirstlane_b32 s6, v10
	v_readfirstlane_b32 s7, v11
	s_mov_b64 s[12:13], exec
	s_waitcnt vmcnt(1)
	v_readfirstlane_b32 s14, v12
	v_readfirstlane_b32 s15, v13
	s_and_b64 s[14:15], s[6:7], s[14:15]
	s_mul_i32 s16, s15, 24
	s_mul_hi_u32 s17, s14, 24
	s_mul_i32 s18, s14, 24
	s_add_i32 s16, s17, s16
	v_mov_b32_e32 v8, s16
	s_waitcnt vmcnt(0)
	v_add_co_u32_e32 v10, vcc, s18, v0
	v_addc_co_u32_e32 v11, vcc, v1, v8, vcc
	s_and_saveexec_b64 s[16:17], s[4:5]
	s_cbranch_execz .LBB3_260
; %bb.259:
	v_pk_mov_b32 v[12:13], s[12:13], s[12:13] op_sel:[0,1]
	v_mov_b32_e32 v14, 2
	v_mov_b32_e32 v15, 1
	global_store_dwordx4 v[10:11], v[12:15], off offset:8
.LBB3_260:
	s_or_b64 exec, exec, s[16:17]
	s_lshl_b64 s[12:13], s[14:15], 12
	v_mov_b32_e32 v8, s13
	v_add_co_u32_e32 v2, vcc, s12, v2
	s_movk_i32 s12, 0xff1f
	v_addc_co_u32_e32 v3, vcc, v3, v8, vcc
	v_and_or_b32 v6, v6, s12, 32
	s_mov_b32 s12, 0
	v_mov_b32_e32 v8, 0x331
	v_readfirstlane_b32 s16, v2
	v_readfirstlane_b32 s17, v3
	s_mov_b32 s13, s12
	v_add_co_u32_e32 v12, vcc, v2, v36
	s_mov_b32 s14, s12
	s_mov_b32 s15, s12
	s_nop 0
	global_store_dwordx4 v36, v[6:9], s[16:17]
	v_addc_co_u32_e32 v13, vcc, 0, v3, vcc
	v_pk_mov_b32 v[6:7], s[12:13], s[12:13] op_sel:[0,1]
	v_pk_mov_b32 v[8:9], s[14:15], s[14:15] op_sel:[0,1]
	global_store_dwordx4 v36, v[6:9], s[16:17] offset:16
	global_store_dwordx4 v36, v[6:9], s[16:17] offset:32
	;; [unrolled: 1-line block ×3, first 2 shown]
	s_and_saveexec_b64 s[12:13], s[4:5]
	s_cbranch_execz .LBB3_268
; %bb.261:
	v_mov_b32_e32 v8, 0
	global_load_dwordx2 v[16:17], v8, s[10:11] offset:32 glc
	global_load_dwordx2 v[2:3], v8, s[10:11] offset:40
	v_mov_b32_e32 v14, s6
	v_mov_b32_e32 v15, s7
	s_waitcnt vmcnt(0)
	v_readfirstlane_b32 s14, v2
	v_readfirstlane_b32 s15, v3
	s_and_b64 s[14:15], s[14:15], s[6:7]
	s_mul_i32 s15, s15, 24
	s_mul_hi_u32 s16, s14, 24
	s_mul_i32 s14, s14, 24
	s_add_i32 s15, s16, s15
	v_mov_b32_e32 v2, s15
	v_add_co_u32_e32 v6, vcc, s14, v0
	v_addc_co_u32_e32 v7, vcc, v1, v2, vcc
	global_store_dwordx2 v[6:7], v[16:17], off
	buffer_wbl2
	s_waitcnt vmcnt(0)
	global_atomic_cmpswap_x2 v[2:3], v8, v[14:17], s[10:11] offset:32 glc
	s_waitcnt vmcnt(0)
	v_cmp_ne_u64_e32 vcc, v[2:3], v[16:17]
	s_and_saveexec_b64 s[14:15], vcc
	s_cbranch_execz .LBB3_264
; %bb.262:
	s_mov_b64 s[16:17], 0
.LBB3_263:                              ; =>This Inner Loop Header: Depth=1
	s_sleep 1
	global_store_dwordx2 v[6:7], v[2:3], off
	v_mov_b32_e32 v0, s6
	v_mov_b32_e32 v1, s7
	buffer_wbl2
	s_waitcnt vmcnt(0)
	global_atomic_cmpswap_x2 v[0:1], v8, v[0:3], s[10:11] offset:32 glc
	s_waitcnt vmcnt(0)
	v_cmp_eq_u64_e32 vcc, v[0:1], v[2:3]
	s_or_b64 s[16:17], vcc, s[16:17]
	v_pk_mov_b32 v[2:3], v[0:1], v[0:1] op_sel:[0,1]
	s_andn2_b64 exec, exec, s[16:17]
	s_cbranch_execnz .LBB3_263
.LBB3_264:
	s_or_b64 exec, exec, s[14:15]
	v_mov_b32_e32 v3, 0
	global_load_dwordx2 v[0:1], v3, s[10:11] offset:16
	s_mov_b64 s[14:15], exec
	v_mbcnt_lo_u32_b32 v2, s14, 0
	v_mbcnt_hi_u32_b32 v2, s15, v2
	v_cmp_eq_u32_e32 vcc, 0, v2
	s_and_saveexec_b64 s[16:17], vcc
	s_cbranch_execz .LBB3_266
; %bb.265:
	s_bcnt1_i32_b64 s14, s[14:15]
	v_mov_b32_e32 v2, s14
	buffer_wbl2
	s_waitcnt vmcnt(0)
	global_atomic_add_x2 v[0:1], v[2:3], off offset:8
.LBB3_266:
	s_or_b64 exec, exec, s[16:17]
	s_waitcnt vmcnt(0)
	global_load_dwordx2 v[2:3], v[0:1], off offset:16
	s_waitcnt vmcnt(0)
	v_cmp_eq_u64_e32 vcc, 0, v[2:3]
	s_cbranch_vccnz .LBB3_268
; %bb.267:
	global_load_dword v0, v[0:1], off offset:24
	v_mov_b32_e32 v1, 0
	buffer_wbl2
	s_waitcnt vmcnt(0)
	global_store_dwordx2 v[2:3], v[0:1], off
	v_and_b32_e32 v0, 0xffffff, v0
	v_readfirstlane_b32 m0, v0
	s_sendmsg sendmsg(MSG_INTERRUPT)
.LBB3_268:
	s_or_b64 exec, exec, s[12:13]
	s_branch .LBB3_272
.LBB3_269:                              ;   in Loop: Header=BB3_272 Depth=1
	s_or_b64 exec, exec, s[12:13]
	v_readfirstlane_b32 s12, v0
	s_cmp_eq_u32 s12, 0
	s_cbranch_scc1 .LBB3_271
; %bb.270:                              ;   in Loop: Header=BB3_272 Depth=1
	s_sleep 1
	s_cbranch_execnz .LBB3_272
	s_branch .LBB3_274
.LBB3_271:
	s_branch .LBB3_274
.LBB3_272:                              ; =>This Inner Loop Header: Depth=1
	v_mov_b32_e32 v0, 1
	s_and_saveexec_b64 s[12:13], s[4:5]
	s_cbranch_execz .LBB3_269
; %bb.273:                              ;   in Loop: Header=BB3_272 Depth=1
	global_load_dword v0, v[10:11], off offset:20 glc
	s_waitcnt vmcnt(0)
	buffer_invl2
	buffer_wbinvl1_vol
	v_and_b32_e32 v0, 1, v0
	s_branch .LBB3_269
.LBB3_274:
	global_load_dwordx2 v[0:1], v[12:13], off
	s_and_saveexec_b64 s[12:13], s[4:5]
	s_cbranch_execz .LBB3_277
; %bb.275:
	v_mov_b32_e32 v10, 0
	global_load_dwordx2 v[2:3], v10, s[10:11] offset:40
	global_load_dwordx2 v[12:13], v10, s[10:11] offset:24 glc
	global_load_dwordx2 v[14:15], v10, s[10:11]
	v_mov_b32_e32 v7, s7
	s_mov_b64 s[4:5], 0
	s_waitcnt vmcnt(2)
	v_add_co_u32_e32 v9, vcc, 1, v2
	v_addc_co_u32_e32 v11, vcc, 0, v3, vcc
	v_add_co_u32_e32 v6, vcc, s6, v9
	v_addc_co_u32_e32 v7, vcc, v11, v7, vcc
	v_cmp_eq_u64_e32 vcc, 0, v[6:7]
	v_cndmask_b32_e32 v7, v7, v11, vcc
	v_cndmask_b32_e32 v6, v6, v9, vcc
	v_and_b32_e32 v3, v7, v3
	v_and_b32_e32 v2, v6, v2
	v_mul_lo_u32 v3, v3, 24
	v_mul_hi_u32 v9, v2, 24
	v_mul_lo_u32 v2, v2, 24
	v_add_u32_e32 v3, v9, v3
	s_waitcnt vmcnt(0)
	v_add_co_u32_e32 v2, vcc, v14, v2
	v_addc_co_u32_e32 v3, vcc, v15, v3, vcc
	v_mov_b32_e32 v8, v12
	global_store_dwordx2 v[2:3], v[12:13], off
	v_mov_b32_e32 v9, v13
	buffer_wbl2
	s_waitcnt vmcnt(0)
	global_atomic_cmpswap_x2 v[8:9], v10, v[6:9], s[10:11] offset:24 glc
	s_waitcnt vmcnt(0)
	v_cmp_ne_u64_e32 vcc, v[8:9], v[12:13]
	s_and_b64 exec, exec, vcc
	s_cbranch_execz .LBB3_277
.LBB3_276:                              ; =>This Inner Loop Header: Depth=1
	s_sleep 1
	global_store_dwordx2 v[2:3], v[8:9], off
	buffer_wbl2
	s_waitcnt vmcnt(0)
	global_atomic_cmpswap_x2 v[12:13], v10, v[6:9], s[10:11] offset:24 glc
	s_waitcnt vmcnt(0)
	v_cmp_eq_u64_e32 vcc, v[12:13], v[8:9]
	s_or_b64 s[4:5], vcc, s[4:5]
	v_pk_mov_b32 v[8:9], v[12:13], v[12:13] op_sel:[0,1]
	s_andn2_b64 exec, exec, s[4:5]
	s_cbranch_execnz .LBB3_276
.LBB3_277:
	s_or_b64 exec, exec, s[12:13]
	s_mov_b64 s[4:5], 0
	v_pk_mov_b32 v[6:7], v[4:5], v[4:5] op_sel:[0,1]
.LBB3_278:                              ; =>This Inner Loop Header: Depth=1
	flat_load_ubyte v8, v[6:7]
	v_add_co_u32_e32 v2, vcc, 1, v6
	v_addc_co_u32_e32 v3, vcc, 0, v7, vcc
	v_pk_mov_b32 v[6:7], v[2:3], v[2:3] op_sel:[0,1]
	s_waitcnt vmcnt(0) lgkmcnt(0)
	v_cmp_eq_u16_e32 vcc, 0, v8
	s_or_b64 s[4:5], vcc, s[4:5]
	s_andn2_b64 exec, exec, s[4:5]
	s_cbranch_execnz .LBB3_278
; %bb.279:
	s_or_b64 exec, exec, s[4:5]
	s_mov_b64 s[6:7], 0
	v_cmp_ne_u64_e32 vcc, 0, v[4:5]
	s_and_saveexec_b64 s[4:5], vcc
	s_xor_b64 s[12:13], exec, s[4:5]
	s_cbranch_execz .LBB3_365
; %bb.280:
	v_sub_u32_e32 v26, v2, v4
	v_ashrrev_i32_e32 v27, 31, v26
	v_and_b32_e32 v28, 2, v0
	v_mov_b32_e32 v31, 0
	v_and_b32_e32 v0, -3, v0
	s_mov_b32 s22, 0
	s_movk_i32 s23, 0xff1f
	v_mov_b32_e32 v8, 2
	v_mov_b32_e32 v9, 1
	s_branch .LBB3_282
.LBB3_281:                              ;   in Loop: Header=BB3_282 Depth=1
	s_or_b64 exec, exec, s[16:17]
	v_sub_co_u32_e32 v26, vcc, v26, v32
	v_subb_co_u32_e32 v27, vcc, v27, v33, vcc
	v_cmp_eq_u64_e32 vcc, 0, v[26:27]
	s_or_b64 s[6:7], vcc, s[6:7]
	v_add_co_u32_e32 v4, vcc, v4, v32
	v_addc_co_u32_e32 v5, vcc, v5, v33, vcc
	s_andn2_b64 exec, exec, s[6:7]
	s_cbranch_execz .LBB3_364
.LBB3_282:                              ; =>This Loop Header: Depth=1
                                        ;     Child Loop BB3_285 Depth 2
                                        ;     Child Loop BB3_293 Depth 2
	;; [unrolled: 1-line block ×11, first 2 shown]
	v_cmp_gt_u64_e32 vcc, 56, v[26:27]
	v_cndmask_b32_e32 v33, 0, v27, vcc
	v_cndmask_b32_e32 v32, 56, v26, vcc
	v_cmp_gt_u64_e32 vcc, 8, v[26:27]
                                        ; implicit-def: $vgpr2_vgpr3
                                        ; implicit-def: $sgpr14
	s_and_saveexec_b64 s[4:5], vcc
	s_xor_b64 s[4:5], exec, s[4:5]
	s_cbranch_execz .LBB3_288
; %bb.283:                              ;   in Loop: Header=BB3_282 Depth=1
	s_mov_b64 s[16:17], 0
	v_cmp_ne_u64_e32 vcc, 0, v[26:27]
	s_waitcnt vmcnt(0)
	v_pk_mov_b32 v[2:3], 0, 0
	s_and_saveexec_b64 s[14:15], vcc
	s_cbranch_execz .LBB3_287
; %bb.284:                              ;   in Loop: Header=BB3_282 Depth=1
	v_lshlrev_b64 v[6:7], 3, v[32:33]
	v_pk_mov_b32 v[2:3], 0, 0
	v_pk_mov_b32 v[10:11], v[4:5], v[4:5] op_sel:[0,1]
	s_mov_b64 s[18:19], 0
.LBB3_285:                              ;   Parent Loop BB3_282 Depth=1
                                        ; =>  This Inner Loop Header: Depth=2
	flat_load_ubyte v7, v[10:11]
	v_mov_b32_e32 v13, s22
	v_add_co_u32_e32 v10, vcc, 1, v10
	v_addc_co_u32_e32 v11, vcc, 0, v11, vcc
	s_waitcnt vmcnt(0) lgkmcnt(0)
	v_and_b32_e32 v12, 0xffff, v7
	v_lshlrev_b64 v[12:13], s18, v[12:13]
	s_add_u32 s18, s18, 8
	s_addc_u32 s19, s19, 0
	v_cmp_eq_u32_e32 vcc, s18, v6
	v_or_b32_e32 v3, v13, v3
	s_or_b64 s[16:17], vcc, s[16:17]
	v_or_b32_e32 v2, v12, v2
	s_andn2_b64 exec, exec, s[16:17]
	s_cbranch_execnz .LBB3_285
; %bb.286:                              ;   in Loop: Header=BB3_282 Depth=1
	s_or_b64 exec, exec, s[16:17]
.LBB3_287:                              ;   in Loop: Header=BB3_282 Depth=1
	s_or_b64 exec, exec, s[14:15]
	s_mov_b32 s14, 0
.LBB3_288:                              ;   in Loop: Header=BB3_282 Depth=1
	s_or_saveexec_b64 s[4:5], s[4:5]
	v_mov_b32_e32 v12, s14
	v_pk_mov_b32 v[6:7], v[4:5], v[4:5] op_sel:[0,1]
	s_xor_b64 exec, exec, s[4:5]
	s_cbranch_execz .LBB3_290
; %bb.289:                              ;   in Loop: Header=BB3_282 Depth=1
	s_waitcnt vmcnt(0)
	flat_load_dwordx2 v[2:3], v[4:5]
	v_add_u32_e32 v12, -8, v32
	s_waitcnt vmcnt(0) lgkmcnt(0)
	v_and_b32_e32 v6, 0xff, v3
	v_and_b32_e32 v7, 0xff00, v3
	v_and_b32_e32 v10, 0xff0000, v3
	v_and_b32_e32 v3, 0xff000000, v3
	v_or_b32_e32 v6, v6, v7
	v_or3_b32 v3, v6, v10, v3
	v_add_co_u32_e32 v6, vcc, 8, v4
	v_or3_b32 v2, v2, 0, 0
	v_addc_co_u32_e32 v7, vcc, 0, v5, vcc
.LBB3_290:                              ;   in Loop: Header=BB3_282 Depth=1
	s_or_b64 exec, exec, s[4:5]
	v_cmp_gt_u32_e32 vcc, 8, v12
                                        ; implicit-def: $vgpr10_vgpr11
                                        ; implicit-def: $sgpr14
	s_and_saveexec_b64 s[4:5], vcc
	s_xor_b64 s[4:5], exec, s[4:5]
	s_cbranch_execz .LBB3_296
; %bb.291:                              ;   in Loop: Header=BB3_282 Depth=1
	v_cmp_ne_u32_e32 vcc, 0, v12
	v_pk_mov_b32 v[10:11], 0, 0
	s_and_saveexec_b64 s[14:15], vcc
	s_cbranch_execz .LBB3_295
; %bb.292:                              ;   in Loop: Header=BB3_282 Depth=1
	s_mov_b64 s[16:17], 0
	v_pk_mov_b32 v[10:11], 0, 0
	s_mov_b64 s[18:19], 0
	s_mov_b64 s[20:21], 0
.LBB3_293:                              ;   Parent Loop BB3_282 Depth=1
                                        ; =>  This Inner Loop Header: Depth=2
	v_mov_b32_e32 v13, s21
	v_add_co_u32_e32 v14, vcc, s20, v6
	v_addc_co_u32_e32 v15, vcc, v7, v13, vcc
	flat_load_ubyte v13, v[14:15]
	s_add_u32 s20, s20, 1
	v_mov_b32_e32 v15, s22
	s_addc_u32 s21, s21, 0
	v_cmp_eq_u32_e32 vcc, s20, v12
	s_waitcnt vmcnt(0) lgkmcnt(0)
	v_and_b32_e32 v14, 0xffff, v13
	v_lshlrev_b64 v[14:15], s18, v[14:15]
	s_add_u32 s18, s18, 8
	s_addc_u32 s19, s19, 0
	v_or_b32_e32 v11, v15, v11
	s_or_b64 s[16:17], vcc, s[16:17]
	v_or_b32_e32 v10, v14, v10
	s_andn2_b64 exec, exec, s[16:17]
	s_cbranch_execnz .LBB3_293
; %bb.294:                              ;   in Loop: Header=BB3_282 Depth=1
	s_or_b64 exec, exec, s[16:17]
.LBB3_295:                              ;   in Loop: Header=BB3_282 Depth=1
	s_or_b64 exec, exec, s[14:15]
	s_mov_b32 s14, 0
                                        ; implicit-def: $vgpr12
.LBB3_296:                              ;   in Loop: Header=BB3_282 Depth=1
	s_or_saveexec_b64 s[4:5], s[4:5]
	v_mov_b32_e32 v14, s14
	s_xor_b64 exec, exec, s[4:5]
	s_cbranch_execz .LBB3_298
; %bb.297:                              ;   in Loop: Header=BB3_282 Depth=1
	flat_load_dwordx2 v[10:11], v[6:7]
	v_add_u32_e32 v14, -8, v12
	v_add_co_u32_e32 v6, vcc, 8, v6
	v_addc_co_u32_e32 v7, vcc, 0, v7, vcc
	s_waitcnt vmcnt(0) lgkmcnt(0)
	v_and_b32_e32 v12, 0xff, v11
	v_and_b32_e32 v13, 0xff00, v11
	;; [unrolled: 1-line block ×4, first 2 shown]
	v_or_b32_e32 v12, v12, v13
	v_or3_b32 v10, v10, 0, 0
	v_or3_b32 v11, v12, v15, v11
.LBB3_298:                              ;   in Loop: Header=BB3_282 Depth=1
	s_or_b64 exec, exec, s[4:5]
	v_cmp_gt_u32_e32 vcc, 8, v14
                                        ; implicit-def: $sgpr14
	s_and_saveexec_b64 s[4:5], vcc
	s_xor_b64 s[4:5], exec, s[4:5]
	s_cbranch_execz .LBB3_304
; %bb.299:                              ;   in Loop: Header=BB3_282 Depth=1
	v_cmp_ne_u32_e32 vcc, 0, v14
	v_pk_mov_b32 v[12:13], 0, 0
	s_and_saveexec_b64 s[14:15], vcc
	s_cbranch_execz .LBB3_303
; %bb.300:                              ;   in Loop: Header=BB3_282 Depth=1
	s_mov_b64 s[16:17], 0
	v_pk_mov_b32 v[12:13], 0, 0
	s_mov_b64 s[18:19], 0
	s_mov_b64 s[20:21], 0
.LBB3_301:                              ;   Parent Loop BB3_282 Depth=1
                                        ; =>  This Inner Loop Header: Depth=2
	v_mov_b32_e32 v15, s21
	v_add_co_u32_e32 v16, vcc, s20, v6
	v_addc_co_u32_e32 v17, vcc, v7, v15, vcc
	flat_load_ubyte v15, v[16:17]
	s_add_u32 s20, s20, 1
	v_mov_b32_e32 v17, s22
	s_addc_u32 s21, s21, 0
	v_cmp_eq_u32_e32 vcc, s20, v14
	s_waitcnt vmcnt(0) lgkmcnt(0)
	v_and_b32_e32 v16, 0xffff, v15
	v_lshlrev_b64 v[16:17], s18, v[16:17]
	s_add_u32 s18, s18, 8
	s_addc_u32 s19, s19, 0
	v_or_b32_e32 v13, v17, v13
	s_or_b64 s[16:17], vcc, s[16:17]
	v_or_b32_e32 v12, v16, v12
	s_andn2_b64 exec, exec, s[16:17]
	s_cbranch_execnz .LBB3_301
; %bb.302:                              ;   in Loop: Header=BB3_282 Depth=1
	s_or_b64 exec, exec, s[16:17]
.LBB3_303:                              ;   in Loop: Header=BB3_282 Depth=1
	s_or_b64 exec, exec, s[14:15]
	s_mov_b32 s14, 0
                                        ; implicit-def: $vgpr14
.LBB3_304:                              ;   in Loop: Header=BB3_282 Depth=1
	s_or_saveexec_b64 s[4:5], s[4:5]
	v_mov_b32_e32 v16, s14
	s_xor_b64 exec, exec, s[4:5]
	s_cbranch_execz .LBB3_306
; %bb.305:                              ;   in Loop: Header=BB3_282 Depth=1
	flat_load_dwordx2 v[12:13], v[6:7]
	v_add_u32_e32 v16, -8, v14
	v_add_co_u32_e32 v6, vcc, 8, v6
	v_addc_co_u32_e32 v7, vcc, 0, v7, vcc
	s_waitcnt vmcnt(0) lgkmcnt(0)
	v_and_b32_e32 v14, 0xff, v13
	v_and_b32_e32 v15, 0xff00, v13
	;; [unrolled: 1-line block ×4, first 2 shown]
	v_or_b32_e32 v14, v14, v15
	v_or3_b32 v12, v12, 0, 0
	v_or3_b32 v13, v14, v17, v13
.LBB3_306:                              ;   in Loop: Header=BB3_282 Depth=1
	s_or_b64 exec, exec, s[4:5]
	v_cmp_gt_u32_e32 vcc, 8, v16
                                        ; implicit-def: $vgpr14_vgpr15
                                        ; implicit-def: $sgpr14
	s_and_saveexec_b64 s[4:5], vcc
	s_xor_b64 s[4:5], exec, s[4:5]
	s_cbranch_execz .LBB3_312
; %bb.307:                              ;   in Loop: Header=BB3_282 Depth=1
	v_cmp_ne_u32_e32 vcc, 0, v16
	v_pk_mov_b32 v[14:15], 0, 0
	s_and_saveexec_b64 s[14:15], vcc
	s_cbranch_execz .LBB3_311
; %bb.308:                              ;   in Loop: Header=BB3_282 Depth=1
	s_mov_b64 s[16:17], 0
	v_pk_mov_b32 v[14:15], 0, 0
	s_mov_b64 s[18:19], 0
	s_mov_b64 s[20:21], 0
.LBB3_309:                              ;   Parent Loop BB3_282 Depth=1
                                        ; =>  This Inner Loop Header: Depth=2
	v_mov_b32_e32 v17, s21
	v_add_co_u32_e32 v18, vcc, s20, v6
	v_addc_co_u32_e32 v19, vcc, v7, v17, vcc
	flat_load_ubyte v17, v[18:19]
	s_add_u32 s20, s20, 1
	v_mov_b32_e32 v19, s22
	s_addc_u32 s21, s21, 0
	v_cmp_eq_u32_e32 vcc, s20, v16
	s_waitcnt vmcnt(0) lgkmcnt(0)
	v_and_b32_e32 v18, 0xffff, v17
	v_lshlrev_b64 v[18:19], s18, v[18:19]
	s_add_u32 s18, s18, 8
	s_addc_u32 s19, s19, 0
	v_or_b32_e32 v15, v19, v15
	s_or_b64 s[16:17], vcc, s[16:17]
	v_or_b32_e32 v14, v18, v14
	s_andn2_b64 exec, exec, s[16:17]
	s_cbranch_execnz .LBB3_309
; %bb.310:                              ;   in Loop: Header=BB3_282 Depth=1
	s_or_b64 exec, exec, s[16:17]
.LBB3_311:                              ;   in Loop: Header=BB3_282 Depth=1
	s_or_b64 exec, exec, s[14:15]
	s_mov_b32 s14, 0
                                        ; implicit-def: $vgpr16
.LBB3_312:                              ;   in Loop: Header=BB3_282 Depth=1
	s_or_saveexec_b64 s[4:5], s[4:5]
	v_mov_b32_e32 v18, s14
	s_xor_b64 exec, exec, s[4:5]
	s_cbranch_execz .LBB3_314
; %bb.313:                              ;   in Loop: Header=BB3_282 Depth=1
	flat_load_dwordx2 v[14:15], v[6:7]
	v_add_u32_e32 v18, -8, v16
	v_add_co_u32_e32 v6, vcc, 8, v6
	v_addc_co_u32_e32 v7, vcc, 0, v7, vcc
	s_waitcnt vmcnt(0) lgkmcnt(0)
	v_and_b32_e32 v16, 0xff, v15
	v_and_b32_e32 v17, 0xff00, v15
	;; [unrolled: 1-line block ×4, first 2 shown]
	v_or_b32_e32 v16, v16, v17
	v_or3_b32 v14, v14, 0, 0
	v_or3_b32 v15, v16, v19, v15
.LBB3_314:                              ;   in Loop: Header=BB3_282 Depth=1
	s_or_b64 exec, exec, s[4:5]
	v_cmp_gt_u32_e32 vcc, 8, v18
                                        ; implicit-def: $sgpr14
	s_and_saveexec_b64 s[4:5], vcc
	s_xor_b64 s[4:5], exec, s[4:5]
	s_cbranch_execz .LBB3_320
; %bb.315:                              ;   in Loop: Header=BB3_282 Depth=1
	v_cmp_ne_u32_e32 vcc, 0, v18
	v_pk_mov_b32 v[16:17], 0, 0
	s_and_saveexec_b64 s[14:15], vcc
	s_cbranch_execz .LBB3_319
; %bb.316:                              ;   in Loop: Header=BB3_282 Depth=1
	s_mov_b64 s[16:17], 0
	v_pk_mov_b32 v[16:17], 0, 0
	s_mov_b64 s[18:19], 0
	s_mov_b64 s[20:21], 0
.LBB3_317:                              ;   Parent Loop BB3_282 Depth=1
                                        ; =>  This Inner Loop Header: Depth=2
	v_mov_b32_e32 v19, s21
	v_add_co_u32_e32 v20, vcc, s20, v6
	v_addc_co_u32_e32 v21, vcc, v7, v19, vcc
	flat_load_ubyte v19, v[20:21]
	s_add_u32 s20, s20, 1
	v_mov_b32_e32 v21, s22
	s_addc_u32 s21, s21, 0
	v_cmp_eq_u32_e32 vcc, s20, v18
	s_waitcnt vmcnt(0) lgkmcnt(0)
	v_and_b32_e32 v20, 0xffff, v19
	v_lshlrev_b64 v[20:21], s18, v[20:21]
	s_add_u32 s18, s18, 8
	s_addc_u32 s19, s19, 0
	v_or_b32_e32 v17, v21, v17
	s_or_b64 s[16:17], vcc, s[16:17]
	v_or_b32_e32 v16, v20, v16
	s_andn2_b64 exec, exec, s[16:17]
	s_cbranch_execnz .LBB3_317
; %bb.318:                              ;   in Loop: Header=BB3_282 Depth=1
	s_or_b64 exec, exec, s[16:17]
.LBB3_319:                              ;   in Loop: Header=BB3_282 Depth=1
	s_or_b64 exec, exec, s[14:15]
	s_mov_b32 s14, 0
                                        ; implicit-def: $vgpr18
.LBB3_320:                              ;   in Loop: Header=BB3_282 Depth=1
	s_or_saveexec_b64 s[4:5], s[4:5]
	v_mov_b32_e32 v20, s14
	s_xor_b64 exec, exec, s[4:5]
	s_cbranch_execz .LBB3_322
; %bb.321:                              ;   in Loop: Header=BB3_282 Depth=1
	flat_load_dwordx2 v[16:17], v[6:7]
	v_add_u32_e32 v20, -8, v18
	v_add_co_u32_e32 v6, vcc, 8, v6
	v_addc_co_u32_e32 v7, vcc, 0, v7, vcc
	s_waitcnt vmcnt(0) lgkmcnt(0)
	v_and_b32_e32 v18, 0xff, v17
	v_and_b32_e32 v19, 0xff00, v17
	;; [unrolled: 1-line block ×4, first 2 shown]
	v_or_b32_e32 v18, v18, v19
	v_or3_b32 v16, v16, 0, 0
	v_or3_b32 v17, v18, v21, v17
.LBB3_322:                              ;   in Loop: Header=BB3_282 Depth=1
	s_or_b64 exec, exec, s[4:5]
	v_cmp_gt_u32_e32 vcc, 8, v20
                                        ; implicit-def: $vgpr18_vgpr19
                                        ; implicit-def: $sgpr14
	s_and_saveexec_b64 s[4:5], vcc
	s_xor_b64 s[4:5], exec, s[4:5]
	s_cbranch_execz .LBB3_328
; %bb.323:                              ;   in Loop: Header=BB3_282 Depth=1
	v_cmp_ne_u32_e32 vcc, 0, v20
	v_pk_mov_b32 v[18:19], 0, 0
	s_and_saveexec_b64 s[14:15], vcc
	s_cbranch_execz .LBB3_327
; %bb.324:                              ;   in Loop: Header=BB3_282 Depth=1
	s_mov_b64 s[16:17], 0
	v_pk_mov_b32 v[18:19], 0, 0
	s_mov_b64 s[18:19], 0
	s_mov_b64 s[20:21], 0
.LBB3_325:                              ;   Parent Loop BB3_282 Depth=1
                                        ; =>  This Inner Loop Header: Depth=2
	v_mov_b32_e32 v21, s21
	v_add_co_u32_e32 v22, vcc, s20, v6
	v_addc_co_u32_e32 v23, vcc, v7, v21, vcc
	flat_load_ubyte v21, v[22:23]
	s_add_u32 s20, s20, 1
	v_mov_b32_e32 v23, s22
	s_addc_u32 s21, s21, 0
	v_cmp_eq_u32_e32 vcc, s20, v20
	s_waitcnt vmcnt(0) lgkmcnt(0)
	v_and_b32_e32 v22, 0xffff, v21
	v_lshlrev_b64 v[22:23], s18, v[22:23]
	s_add_u32 s18, s18, 8
	s_addc_u32 s19, s19, 0
	v_or_b32_e32 v19, v23, v19
	s_or_b64 s[16:17], vcc, s[16:17]
	v_or_b32_e32 v18, v22, v18
	s_andn2_b64 exec, exec, s[16:17]
	s_cbranch_execnz .LBB3_325
; %bb.326:                              ;   in Loop: Header=BB3_282 Depth=1
	s_or_b64 exec, exec, s[16:17]
.LBB3_327:                              ;   in Loop: Header=BB3_282 Depth=1
	s_or_b64 exec, exec, s[14:15]
	s_mov_b32 s14, 0
                                        ; implicit-def: $vgpr20
.LBB3_328:                              ;   in Loop: Header=BB3_282 Depth=1
	s_or_saveexec_b64 s[4:5], s[4:5]
	v_mov_b32_e32 v22, s14
	s_xor_b64 exec, exec, s[4:5]
	s_cbranch_execz .LBB3_330
; %bb.329:                              ;   in Loop: Header=BB3_282 Depth=1
	flat_load_dwordx2 v[18:19], v[6:7]
	v_add_u32_e32 v22, -8, v20
	v_add_co_u32_e32 v6, vcc, 8, v6
	v_addc_co_u32_e32 v7, vcc, 0, v7, vcc
	s_waitcnt vmcnt(0) lgkmcnt(0)
	v_and_b32_e32 v20, 0xff, v19
	v_and_b32_e32 v21, 0xff00, v19
	v_and_b32_e32 v23, 0xff0000, v19
	v_and_b32_e32 v19, 0xff000000, v19
	v_or_b32_e32 v20, v20, v21
	v_or3_b32 v18, v18, 0, 0
	v_or3_b32 v19, v20, v23, v19
.LBB3_330:                              ;   in Loop: Header=BB3_282 Depth=1
	s_or_b64 exec, exec, s[4:5]
	v_cmp_gt_u32_e32 vcc, 8, v22
	s_and_saveexec_b64 s[4:5], vcc
	s_xor_b64 s[4:5], exec, s[4:5]
	s_cbranch_execz .LBB3_336
; %bb.331:                              ;   in Loop: Header=BB3_282 Depth=1
	v_cmp_ne_u32_e32 vcc, 0, v22
	v_pk_mov_b32 v[20:21], 0, 0
	s_and_saveexec_b64 s[14:15], vcc
	s_cbranch_execz .LBB3_335
; %bb.332:                              ;   in Loop: Header=BB3_282 Depth=1
	s_mov_b64 s[16:17], 0
	v_pk_mov_b32 v[20:21], 0, 0
	s_mov_b64 s[18:19], 0
.LBB3_333:                              ;   Parent Loop BB3_282 Depth=1
                                        ; =>  This Inner Loop Header: Depth=2
	flat_load_ubyte v23, v[6:7]
	v_mov_b32_e32 v25, s22
	v_add_co_u32_e32 v6, vcc, 1, v6
	v_add_u32_e32 v22, -1, v22
	v_addc_co_u32_e32 v7, vcc, 0, v7, vcc
	v_cmp_eq_u32_e32 vcc, 0, v22
	s_waitcnt vmcnt(0) lgkmcnt(0)
	v_and_b32_e32 v24, 0xffff, v23
	v_lshlrev_b64 v[24:25], s18, v[24:25]
	s_add_u32 s18, s18, 8
	s_addc_u32 s19, s19, 0
	v_or_b32_e32 v21, v25, v21
	s_or_b64 s[16:17], vcc, s[16:17]
	v_or_b32_e32 v20, v24, v20
	s_andn2_b64 exec, exec, s[16:17]
	s_cbranch_execnz .LBB3_333
; %bb.334:                              ;   in Loop: Header=BB3_282 Depth=1
	s_or_b64 exec, exec, s[16:17]
.LBB3_335:                              ;   in Loop: Header=BB3_282 Depth=1
	s_or_b64 exec, exec, s[14:15]
                                        ; implicit-def: $vgpr6_vgpr7
.LBB3_336:                              ;   in Loop: Header=BB3_282 Depth=1
	s_andn2_saveexec_b64 s[4:5], s[4:5]
	s_cbranch_execz .LBB3_338
; %bb.337:                              ;   in Loop: Header=BB3_282 Depth=1
	flat_load_dwordx2 v[6:7], v[6:7]
	s_waitcnt vmcnt(0) lgkmcnt(0)
	v_and_b32_e32 v20, 0xff, v7
	v_and_b32_e32 v21, 0xff00, v7
	;; [unrolled: 1-line block ×4, first 2 shown]
	v_or_b32_e32 v20, v20, v21
	v_or3_b32 v21, v20, v22, v7
	v_or3_b32 v20, v6, 0, 0
.LBB3_338:                              ;   in Loop: Header=BB3_282 Depth=1
	s_or_b64 exec, exec, s[4:5]
	v_readfirstlane_b32 s4, v37
	v_cmp_eq_u32_e64 s[4:5], s4, v37
	v_pk_mov_b32 v[6:7], 0, 0
	s_and_saveexec_b64 s[14:15], s[4:5]
	s_cbranch_execz .LBB3_344
; %bb.339:                              ;   in Loop: Header=BB3_282 Depth=1
	global_load_dwordx2 v[24:25], v31, s[10:11] offset:24 glc
	s_waitcnt vmcnt(0)
	buffer_invl2
	buffer_wbinvl1_vol
	global_load_dwordx2 v[6:7], v31, s[10:11] offset:40
	global_load_dwordx2 v[22:23], v31, s[10:11]
	s_waitcnt vmcnt(1)
	v_and_b32_e32 v6, v6, v24
	v_and_b32_e32 v7, v7, v25
	v_mul_lo_u32 v7, v7, 24
	v_mul_hi_u32 v29, v6, 24
	v_mul_lo_u32 v6, v6, 24
	v_add_u32_e32 v7, v29, v7
	s_waitcnt vmcnt(0)
	v_add_co_u32_e32 v6, vcc, v22, v6
	v_addc_co_u32_e32 v7, vcc, v23, v7, vcc
	global_load_dwordx2 v[22:23], v[6:7], off glc
	s_waitcnt vmcnt(0)
	global_atomic_cmpswap_x2 v[6:7], v31, v[22:25], s[10:11] offset:24 glc
	s_waitcnt vmcnt(0)
	buffer_invl2
	buffer_wbinvl1_vol
	v_cmp_ne_u64_e32 vcc, v[6:7], v[24:25]
	s_and_saveexec_b64 s[16:17], vcc
	s_cbranch_execz .LBB3_343
; %bb.340:                              ;   in Loop: Header=BB3_282 Depth=1
	s_mov_b64 s[18:19], 0
.LBB3_341:                              ;   Parent Loop BB3_282 Depth=1
                                        ; =>  This Inner Loop Header: Depth=2
	s_sleep 1
	global_load_dwordx2 v[22:23], v31, s[10:11] offset:40
	global_load_dwordx2 v[34:35], v31, s[10:11]
	v_pk_mov_b32 v[24:25], v[6:7], v[6:7] op_sel:[0,1]
	s_waitcnt vmcnt(1)
	v_and_b32_e32 v6, v22, v24
	s_waitcnt vmcnt(0)
	v_mad_u64_u32 v[6:7], s[20:21], v6, 24, v[34:35]
	v_and_b32_e32 v23, v23, v25
	v_mov_b32_e32 v22, v7
	v_mad_u64_u32 v[22:23], s[20:21], v23, 24, v[22:23]
	v_mov_b32_e32 v7, v22
	global_load_dwordx2 v[22:23], v[6:7], off glc
	s_waitcnt vmcnt(0)
	global_atomic_cmpswap_x2 v[6:7], v31, v[22:25], s[10:11] offset:24 glc
	s_waitcnt vmcnt(0)
	buffer_invl2
	buffer_wbinvl1_vol
	v_cmp_eq_u64_e32 vcc, v[6:7], v[24:25]
	s_or_b64 s[18:19], vcc, s[18:19]
	s_andn2_b64 exec, exec, s[18:19]
	s_cbranch_execnz .LBB3_341
; %bb.342:                              ;   in Loop: Header=BB3_282 Depth=1
	s_or_b64 exec, exec, s[18:19]
.LBB3_343:                              ;   in Loop: Header=BB3_282 Depth=1
	s_or_b64 exec, exec, s[16:17]
.LBB3_344:                              ;   in Loop: Header=BB3_282 Depth=1
	s_or_b64 exec, exec, s[14:15]
	global_load_dwordx2 v[34:35], v31, s[10:11] offset:40
	global_load_dwordx4 v[22:25], v31, s[10:11]
	v_readfirstlane_b32 s14, v6
	v_readfirstlane_b32 s15, v7
	s_mov_b64 s[16:17], exec
	s_waitcnt vmcnt(1)
	v_readfirstlane_b32 s18, v34
	v_readfirstlane_b32 s19, v35
	s_and_b64 s[18:19], s[14:15], s[18:19]
	s_mul_i32 s20, s19, 24
	s_mul_hi_u32 s21, s18, 24
	s_mul_i32 s24, s18, 24
	s_add_i32 s20, s21, s20
	v_mov_b32_e32 v6, s20
	s_waitcnt vmcnt(0)
	v_add_co_u32_e32 v34, vcc, s24, v22
	v_addc_co_u32_e32 v35, vcc, v23, v6, vcc
	s_and_saveexec_b64 s[20:21], s[4:5]
	s_cbranch_execz .LBB3_346
; %bb.345:                              ;   in Loop: Header=BB3_282 Depth=1
	v_pk_mov_b32 v[6:7], s[16:17], s[16:17] op_sel:[0,1]
	global_store_dwordx4 v[34:35], v[6:9], off offset:8
.LBB3_346:                              ;   in Loop: Header=BB3_282 Depth=1
	s_or_b64 exec, exec, s[20:21]
	s_lshl_b64 s[16:17], s[18:19], 12
	v_mov_b32_e32 v7, s17
	v_add_co_u32_e32 v6, vcc, s16, v24
	v_addc_co_u32_e32 v7, vcc, v25, v7, vcc
	v_or_b32_e32 v24, 0, v1
	v_cmp_lt_u64_e32 vcc, 56, v[26:27]
	v_or_b32_e32 v25, v0, v28
	v_cndmask_b32_e32 v1, v24, v1, vcc
	v_lshl_add_u32 v24, v32, 2, 28
	v_cndmask_b32_e32 v0, v25, v0, vcc
	v_and_b32_e32 v24, 0x1e0, v24
	v_and_or_b32 v0, v0, s23, v24
	v_readfirstlane_b32 s16, v6
	v_readfirstlane_b32 s17, v7
	s_nop 4
	global_store_dwordx4 v36, v[0:3], s[16:17]
	global_store_dwordx4 v36, v[10:13], s[16:17] offset:16
	global_store_dwordx4 v36, v[14:17], s[16:17] offset:32
	global_store_dwordx4 v36, v[18:21], s[16:17] offset:48
	s_and_saveexec_b64 s[16:17], s[4:5]
	s_cbranch_execz .LBB3_354
; %bb.347:                              ;   in Loop: Header=BB3_282 Depth=1
	global_load_dwordx2 v[14:15], v31, s[10:11] offset:32 glc
	global_load_dwordx2 v[0:1], v31, s[10:11] offset:40
	v_mov_b32_e32 v12, s14
	v_mov_b32_e32 v13, s15
	s_waitcnt vmcnt(0)
	v_readfirstlane_b32 s18, v0
	v_readfirstlane_b32 s19, v1
	s_and_b64 s[18:19], s[18:19], s[14:15]
	s_mul_i32 s19, s19, 24
	s_mul_hi_u32 s20, s18, 24
	s_mul_i32 s18, s18, 24
	s_add_i32 s19, s20, s19
	v_mov_b32_e32 v0, s19
	v_add_co_u32_e32 v10, vcc, s18, v22
	v_addc_co_u32_e32 v11, vcc, v23, v0, vcc
	global_store_dwordx2 v[10:11], v[14:15], off
	buffer_wbl2
	s_waitcnt vmcnt(0)
	global_atomic_cmpswap_x2 v[2:3], v31, v[12:15], s[10:11] offset:32 glc
	s_waitcnt vmcnt(0)
	v_cmp_ne_u64_e32 vcc, v[2:3], v[14:15]
	s_and_saveexec_b64 s[18:19], vcc
	s_cbranch_execz .LBB3_350
; %bb.348:                              ;   in Loop: Header=BB3_282 Depth=1
	s_mov_b64 s[20:21], 0
.LBB3_349:                              ;   Parent Loop BB3_282 Depth=1
                                        ; =>  This Inner Loop Header: Depth=2
	s_sleep 1
	global_store_dwordx2 v[10:11], v[2:3], off
	v_mov_b32_e32 v0, s14
	v_mov_b32_e32 v1, s15
	buffer_wbl2
	s_waitcnt vmcnt(0)
	global_atomic_cmpswap_x2 v[0:1], v31, v[0:3], s[10:11] offset:32 glc
	s_waitcnt vmcnt(0)
	v_cmp_eq_u64_e32 vcc, v[0:1], v[2:3]
	s_or_b64 s[20:21], vcc, s[20:21]
	v_pk_mov_b32 v[2:3], v[0:1], v[0:1] op_sel:[0,1]
	s_andn2_b64 exec, exec, s[20:21]
	s_cbranch_execnz .LBB3_349
.LBB3_350:                              ;   in Loop: Header=BB3_282 Depth=1
	s_or_b64 exec, exec, s[18:19]
	global_load_dwordx2 v[0:1], v31, s[10:11] offset:16
	s_mov_b64 s[20:21], exec
	v_mbcnt_lo_u32_b32 v2, s20, 0
	v_mbcnt_hi_u32_b32 v2, s21, v2
	v_cmp_eq_u32_e32 vcc, 0, v2
	s_and_saveexec_b64 s[18:19], vcc
	s_cbranch_execz .LBB3_352
; %bb.351:                              ;   in Loop: Header=BB3_282 Depth=1
	s_bcnt1_i32_b64 s20, s[20:21]
	v_mov_b32_e32 v30, s20
	buffer_wbl2
	s_waitcnt vmcnt(0)
	global_atomic_add_x2 v[0:1], v[30:31], off offset:8
.LBB3_352:                              ;   in Loop: Header=BB3_282 Depth=1
	s_or_b64 exec, exec, s[18:19]
	s_waitcnt vmcnt(0)
	global_load_dwordx2 v[2:3], v[0:1], off offset:16
	s_waitcnt vmcnt(0)
	v_cmp_eq_u64_e32 vcc, 0, v[2:3]
	s_cbranch_vccnz .LBB3_354
; %bb.353:                              ;   in Loop: Header=BB3_282 Depth=1
	global_load_dword v30, v[0:1], off offset:24
	s_waitcnt vmcnt(0)
	v_and_b32_e32 v0, 0xffffff, v30
	v_readfirstlane_b32 m0, v0
	buffer_wbl2
	global_store_dwordx2 v[2:3], v[30:31], off
	s_sendmsg sendmsg(MSG_INTERRUPT)
.LBB3_354:                              ;   in Loop: Header=BB3_282 Depth=1
	s_or_b64 exec, exec, s[16:17]
	v_add_co_u32_e32 v0, vcc, v6, v36
	v_addc_co_u32_e32 v1, vcc, 0, v7, vcc
	s_branch .LBB3_358
.LBB3_355:                              ;   in Loop: Header=BB3_358 Depth=2
	s_or_b64 exec, exec, s[16:17]
	v_readfirstlane_b32 s16, v2
	s_cmp_eq_u32 s16, 0
	s_cbranch_scc1 .LBB3_357
; %bb.356:                              ;   in Loop: Header=BB3_358 Depth=2
	s_sleep 1
	s_cbranch_execnz .LBB3_358
	s_branch .LBB3_360
.LBB3_357:                              ;   in Loop: Header=BB3_282 Depth=1
	s_branch .LBB3_360
.LBB3_358:                              ;   Parent Loop BB3_282 Depth=1
                                        ; =>  This Inner Loop Header: Depth=2
	v_mov_b32_e32 v2, 1
	s_and_saveexec_b64 s[16:17], s[4:5]
	s_cbranch_execz .LBB3_355
; %bb.359:                              ;   in Loop: Header=BB3_358 Depth=2
	global_load_dword v2, v[34:35], off offset:20 glc
	s_waitcnt vmcnt(0)
	buffer_invl2
	buffer_wbinvl1_vol
	v_and_b32_e32 v2, 1, v2
	s_branch .LBB3_355
.LBB3_360:                              ;   in Loop: Header=BB3_282 Depth=1
	global_load_dwordx4 v[0:3], v[0:1], off
	s_and_saveexec_b64 s[16:17], s[4:5]
	s_cbranch_execz .LBB3_281
; %bb.361:                              ;   in Loop: Header=BB3_282 Depth=1
	global_load_dwordx2 v[2:3], v31, s[10:11] offset:40
	global_load_dwordx2 v[6:7], v31, s[10:11] offset:24 glc
	global_load_dwordx2 v[14:15], v31, s[10:11]
	v_mov_b32_e32 v11, s15
	s_waitcnt vmcnt(2)
	v_add_co_u32_e32 v13, vcc, 1, v2
	v_addc_co_u32_e32 v16, vcc, 0, v3, vcc
	v_add_co_u32_e32 v10, vcc, s14, v13
	v_addc_co_u32_e32 v11, vcc, v16, v11, vcc
	v_cmp_eq_u64_e32 vcc, 0, v[10:11]
	v_cndmask_b32_e32 v11, v11, v16, vcc
	v_cndmask_b32_e32 v10, v10, v13, vcc
	v_and_b32_e32 v3, v11, v3
	v_and_b32_e32 v2, v10, v2
	v_mul_lo_u32 v3, v3, 24
	v_mul_hi_u32 v13, v2, 24
	v_mul_lo_u32 v2, v2, 24
	v_add_u32_e32 v3, v13, v3
	s_waitcnt vmcnt(0)
	v_add_co_u32_e32 v2, vcc, v14, v2
	v_addc_co_u32_e32 v3, vcc, v15, v3, vcc
	v_mov_b32_e32 v12, v6
	global_store_dwordx2 v[2:3], v[6:7], off
	v_mov_b32_e32 v13, v7
	buffer_wbl2
	s_waitcnt vmcnt(0)
	global_atomic_cmpswap_x2 v[12:13], v31, v[10:13], s[10:11] offset:24 glc
	s_waitcnt vmcnt(0)
	v_cmp_ne_u64_e32 vcc, v[12:13], v[6:7]
	s_and_b64 exec, exec, vcc
	s_cbranch_execz .LBB3_281
; %bb.362:                              ;   in Loop: Header=BB3_282 Depth=1
	s_mov_b64 s[4:5], 0
.LBB3_363:                              ;   Parent Loop BB3_282 Depth=1
                                        ; =>  This Inner Loop Header: Depth=2
	s_sleep 1
	global_store_dwordx2 v[2:3], v[12:13], off
	buffer_wbl2
	s_waitcnt vmcnt(0)
	global_atomic_cmpswap_x2 v[6:7], v31, v[10:13], s[10:11] offset:24 glc
	s_waitcnt vmcnt(0)
	v_cmp_eq_u64_e32 vcc, v[6:7], v[12:13]
	s_or_b64 s[4:5], vcc, s[4:5]
	v_pk_mov_b32 v[12:13], v[6:7], v[6:7] op_sel:[0,1]
	s_andn2_b64 exec, exec, s[4:5]
	s_cbranch_execnz .LBB3_363
	s_branch .LBB3_281
.LBB3_364:
	s_or_b64 exec, exec, s[6:7]
                                        ; implicit-def: $vgpr36
                                        ; implicit-def: $vgpr37
.LBB3_365:
	s_andn2_saveexec_b64 s[6:7], s[12:13]
	s_cbranch_execz .LBB3_392
; %bb.366:
	v_readfirstlane_b32 s4, v37
	v_cmp_eq_u32_e64 s[4:5], s4, v37
	v_pk_mov_b32 v[8:9], 0, 0
	s_and_saveexec_b64 s[12:13], s[4:5]
	s_cbranch_execz .LBB3_372
; %bb.367:
	s_waitcnt vmcnt(0)
	v_mov_b32_e32 v2, 0
	global_load_dwordx2 v[6:7], v2, s[10:11] offset:24 glc
	s_waitcnt vmcnt(0)
	buffer_invl2
	buffer_wbinvl1_vol
	global_load_dwordx2 v[4:5], v2, s[10:11] offset:40
	global_load_dwordx2 v[8:9], v2, s[10:11]
	s_waitcnt vmcnt(1)
	v_and_b32_e32 v3, v4, v6
	v_and_b32_e32 v4, v5, v7
	v_mul_lo_u32 v4, v4, 24
	v_mul_hi_u32 v5, v3, 24
	v_mul_lo_u32 v3, v3, 24
	v_add_u32_e32 v5, v5, v4
	s_waitcnt vmcnt(0)
	v_add_co_u32_e32 v4, vcc, v8, v3
	v_addc_co_u32_e32 v5, vcc, v9, v5, vcc
	global_load_dwordx2 v[4:5], v[4:5], off glc
	s_waitcnt vmcnt(0)
	global_atomic_cmpswap_x2 v[8:9], v2, v[4:7], s[10:11] offset:24 glc
	s_waitcnt vmcnt(0)
	buffer_invl2
	buffer_wbinvl1_vol
	v_cmp_ne_u64_e32 vcc, v[8:9], v[6:7]
	s_and_saveexec_b64 s[14:15], vcc
	s_cbranch_execz .LBB3_371
; %bb.368:
	s_mov_b64 s[16:17], 0
.LBB3_369:                              ; =>This Inner Loop Header: Depth=1
	s_sleep 1
	global_load_dwordx2 v[4:5], v2, s[10:11] offset:40
	global_load_dwordx2 v[10:11], v2, s[10:11]
	v_pk_mov_b32 v[6:7], v[8:9], v[8:9] op_sel:[0,1]
	s_waitcnt vmcnt(1)
	v_and_b32_e32 v4, v4, v6
	v_and_b32_e32 v3, v5, v7
	s_waitcnt vmcnt(0)
	v_mad_u64_u32 v[4:5], s[18:19], v4, 24, v[10:11]
	v_mov_b32_e32 v8, v5
	v_mad_u64_u32 v[8:9], s[18:19], v3, 24, v[8:9]
	v_mov_b32_e32 v5, v8
	global_load_dwordx2 v[4:5], v[4:5], off glc
	s_waitcnt vmcnt(0)
	global_atomic_cmpswap_x2 v[8:9], v2, v[4:7], s[10:11] offset:24 glc
	s_waitcnt vmcnt(0)
	buffer_invl2
	buffer_wbinvl1_vol
	v_cmp_eq_u64_e32 vcc, v[8:9], v[6:7]
	s_or_b64 s[16:17], vcc, s[16:17]
	s_andn2_b64 exec, exec, s[16:17]
	s_cbranch_execnz .LBB3_369
; %bb.370:
	s_or_b64 exec, exec, s[16:17]
.LBB3_371:
	s_or_b64 exec, exec, s[14:15]
.LBB3_372:
	s_or_b64 exec, exec, s[12:13]
	s_waitcnt vmcnt(0)
	v_mov_b32_e32 v2, 0
	global_load_dwordx2 v[10:11], v2, s[10:11] offset:40
	global_load_dwordx4 v[4:7], v2, s[10:11]
	v_readfirstlane_b32 s12, v8
	v_readfirstlane_b32 s13, v9
	s_mov_b64 s[14:15], exec
	s_waitcnt vmcnt(1)
	v_readfirstlane_b32 s16, v10
	v_readfirstlane_b32 s17, v11
	s_and_b64 s[16:17], s[12:13], s[16:17]
	s_mul_i32 s18, s17, 24
	s_mul_hi_u32 s19, s16, 24
	s_mul_i32 s20, s16, 24
	s_add_i32 s18, s19, s18
	v_mov_b32_e32 v3, s18
	s_waitcnt vmcnt(0)
	v_add_co_u32_e32 v8, vcc, s20, v4
	v_addc_co_u32_e32 v9, vcc, v5, v3, vcc
	s_and_saveexec_b64 s[18:19], s[4:5]
	s_cbranch_execz .LBB3_374
; %bb.373:
	v_pk_mov_b32 v[10:11], s[14:15], s[14:15] op_sel:[0,1]
	v_mov_b32_e32 v12, 2
	v_mov_b32_e32 v13, 1
	global_store_dwordx4 v[8:9], v[10:13], off offset:8
.LBB3_374:
	s_or_b64 exec, exec, s[18:19]
	s_lshl_b64 s[14:15], s[16:17], 12
	v_mov_b32_e32 v3, s15
	v_add_co_u32_e32 v10, vcc, s14, v6
	v_addc_co_u32_e32 v11, vcc, v7, v3, vcc
	s_movk_i32 s14, 0xff1f
	s_mov_b32 s16, 0
	v_and_or_b32 v0, v0, s14, 32
	v_mov_b32_e32 v3, v2
	v_readfirstlane_b32 s14, v10
	v_readfirstlane_b32 s15, v11
	s_mov_b32 s17, s16
	v_add_co_u32_e32 v6, vcc, v10, v36
	s_mov_b32 s18, s16
	s_mov_b32 s19, s16
	s_nop 0
	global_store_dwordx4 v36, v[0:3], s[14:15]
	v_addc_co_u32_e32 v7, vcc, 0, v11, vcc
	v_pk_mov_b32 v[0:1], s[16:17], s[16:17] op_sel:[0,1]
	v_pk_mov_b32 v[2:3], s[18:19], s[18:19] op_sel:[0,1]
	global_store_dwordx4 v36, v[0:3], s[14:15] offset:16
	global_store_dwordx4 v36, v[0:3], s[14:15] offset:32
	;; [unrolled: 1-line block ×3, first 2 shown]
	s_and_saveexec_b64 s[14:15], s[4:5]
	s_cbranch_execz .LBB3_382
; %bb.375:
	v_mov_b32_e32 v10, 0
	global_load_dwordx2 v[14:15], v10, s[10:11] offset:32 glc
	global_load_dwordx2 v[0:1], v10, s[10:11] offset:40
	v_mov_b32_e32 v12, s12
	v_mov_b32_e32 v13, s13
	s_waitcnt vmcnt(0)
	v_readfirstlane_b32 s16, v0
	v_readfirstlane_b32 s17, v1
	s_and_b64 s[16:17], s[16:17], s[12:13]
	s_mul_i32 s17, s17, 24
	s_mul_hi_u32 s18, s16, 24
	s_mul_i32 s16, s16, 24
	s_add_i32 s17, s18, s17
	v_mov_b32_e32 v0, s17
	v_add_co_u32_e32 v4, vcc, s16, v4
	v_addc_co_u32_e32 v5, vcc, v5, v0, vcc
	global_store_dwordx2 v[4:5], v[14:15], off
	buffer_wbl2
	s_waitcnt vmcnt(0)
	global_atomic_cmpswap_x2 v[2:3], v10, v[12:15], s[10:11] offset:32 glc
	s_waitcnt vmcnt(0)
	v_cmp_ne_u64_e32 vcc, v[2:3], v[14:15]
	s_and_saveexec_b64 s[16:17], vcc
	s_cbranch_execz .LBB3_378
; %bb.376:
	s_mov_b64 s[18:19], 0
.LBB3_377:                              ; =>This Inner Loop Header: Depth=1
	s_sleep 1
	global_store_dwordx2 v[4:5], v[2:3], off
	v_mov_b32_e32 v0, s12
	v_mov_b32_e32 v1, s13
	buffer_wbl2
	s_waitcnt vmcnt(0)
	global_atomic_cmpswap_x2 v[0:1], v10, v[0:3], s[10:11] offset:32 glc
	s_waitcnt vmcnt(0)
	v_cmp_eq_u64_e32 vcc, v[0:1], v[2:3]
	s_or_b64 s[18:19], vcc, s[18:19]
	v_pk_mov_b32 v[2:3], v[0:1], v[0:1] op_sel:[0,1]
	s_andn2_b64 exec, exec, s[18:19]
	s_cbranch_execnz .LBB3_377
.LBB3_378:
	s_or_b64 exec, exec, s[16:17]
	v_mov_b32_e32 v3, 0
	global_load_dwordx2 v[0:1], v3, s[10:11] offset:16
	s_mov_b64 s[16:17], exec
	v_mbcnt_lo_u32_b32 v2, s16, 0
	v_mbcnt_hi_u32_b32 v2, s17, v2
	v_cmp_eq_u32_e32 vcc, 0, v2
	s_and_saveexec_b64 s[18:19], vcc
	s_cbranch_execz .LBB3_380
; %bb.379:
	s_bcnt1_i32_b64 s16, s[16:17]
	v_mov_b32_e32 v2, s16
	buffer_wbl2
	s_waitcnt vmcnt(0)
	global_atomic_add_x2 v[0:1], v[2:3], off offset:8
.LBB3_380:
	s_or_b64 exec, exec, s[18:19]
	s_waitcnt vmcnt(0)
	global_load_dwordx2 v[2:3], v[0:1], off offset:16
	s_waitcnt vmcnt(0)
	v_cmp_eq_u64_e32 vcc, 0, v[2:3]
	s_cbranch_vccnz .LBB3_382
; %bb.381:
	global_load_dword v0, v[0:1], off offset:24
	v_mov_b32_e32 v1, 0
	buffer_wbl2
	s_waitcnt vmcnt(0)
	global_store_dwordx2 v[2:3], v[0:1], off
	v_and_b32_e32 v0, 0xffffff, v0
	v_readfirstlane_b32 m0, v0
	s_sendmsg sendmsg(MSG_INTERRUPT)
.LBB3_382:
	s_or_b64 exec, exec, s[14:15]
	s_branch .LBB3_386
.LBB3_383:                              ;   in Loop: Header=BB3_386 Depth=1
	s_or_b64 exec, exec, s[14:15]
	v_readfirstlane_b32 s14, v0
	s_cmp_eq_u32 s14, 0
	s_cbranch_scc1 .LBB3_385
; %bb.384:                              ;   in Loop: Header=BB3_386 Depth=1
	s_sleep 1
	s_cbranch_execnz .LBB3_386
	s_branch .LBB3_388
.LBB3_385:
	s_branch .LBB3_388
.LBB3_386:                              ; =>This Inner Loop Header: Depth=1
	v_mov_b32_e32 v0, 1
	s_and_saveexec_b64 s[14:15], s[4:5]
	s_cbranch_execz .LBB3_383
; %bb.387:                              ;   in Loop: Header=BB3_386 Depth=1
	global_load_dword v0, v[8:9], off offset:20 glc
	s_waitcnt vmcnt(0)
	buffer_invl2
	buffer_wbinvl1_vol
	v_and_b32_e32 v0, 1, v0
	s_branch .LBB3_383
.LBB3_388:
	global_load_dwordx2 v[0:1], v[6:7], off
	s_and_saveexec_b64 s[14:15], s[4:5]
	s_cbranch_execz .LBB3_391
; %bb.389:
	v_mov_b32_e32 v8, 0
	global_load_dwordx2 v[6:7], v8, s[10:11] offset:40
	global_load_dwordx2 v[10:11], v8, s[10:11] offset:24 glc
	global_load_dwordx2 v[12:13], v8, s[10:11]
	v_mov_b32_e32 v3, s13
	s_mov_b64 s[4:5], 0
	s_waitcnt vmcnt(2)
	v_add_co_u32_e32 v5, vcc, 1, v6
	v_addc_co_u32_e32 v9, vcc, 0, v7, vcc
	v_add_co_u32_e32 v2, vcc, s12, v5
	v_addc_co_u32_e32 v3, vcc, v9, v3, vcc
	v_cmp_eq_u64_e32 vcc, 0, v[2:3]
	v_cndmask_b32_e32 v3, v3, v9, vcc
	v_cndmask_b32_e32 v2, v2, v5, vcc
	v_and_b32_e32 v5, v3, v7
	v_and_b32_e32 v6, v2, v6
	v_mul_lo_u32 v5, v5, 24
	v_mul_hi_u32 v7, v6, 24
	v_mul_lo_u32 v6, v6, 24
	v_add_u32_e32 v5, v7, v5
	s_waitcnt vmcnt(0)
	v_add_co_u32_e32 v6, vcc, v12, v6
	v_addc_co_u32_e32 v7, vcc, v13, v5, vcc
	v_mov_b32_e32 v4, v10
	global_store_dwordx2 v[6:7], v[10:11], off
	v_mov_b32_e32 v5, v11
	buffer_wbl2
	s_waitcnt vmcnt(0)
	global_atomic_cmpswap_x2 v[4:5], v8, v[2:5], s[10:11] offset:24 glc
	s_waitcnt vmcnt(0)
	v_cmp_ne_u64_e32 vcc, v[4:5], v[10:11]
	s_and_b64 exec, exec, vcc
	s_cbranch_execz .LBB3_391
.LBB3_390:                              ; =>This Inner Loop Header: Depth=1
	s_sleep 1
	global_store_dwordx2 v[6:7], v[4:5], off
	buffer_wbl2
	s_waitcnt vmcnt(0)
	global_atomic_cmpswap_x2 v[10:11], v8, v[2:5], s[10:11] offset:24 glc
	s_waitcnt vmcnt(0)
	v_cmp_eq_u64_e32 vcc, v[10:11], v[4:5]
	s_or_b64 s[4:5], vcc, s[4:5]
	v_pk_mov_b32 v[4:5], v[10:11], v[10:11] op_sel:[0,1]
	s_andn2_b64 exec, exec, s[4:5]
	s_cbranch_execnz .LBB3_390
.LBB3_391:
	s_or_b64 exec, exec, s[14:15]
.LBB3_392:
	s_or_b64 exec, exec, s[6:7]
	s_getpc_b64 s[4:5]
	s_add_u32 s4, s4, .str.2@rel32@lo+4
	s_addc_u32 s5, s5, .str.2@rel32@hi+12
	s_getpc_b64 s[6:7]
	s_add_u32 s6, s6, .str.2@rel32@lo+32
	s_addc_u32 s7, s7, .str.2@rel32@hi+40
	s_sub_i32 s10, s6, s4
	s_ashr_i32 s11, s10, 31
	s_waitcnt vmcnt(0)
	v_mov_b32_e32 v2, s4
	v_mov_b32_e32 v3, s5
	;; [unrolled: 1-line block ×5, first 2 shown]
	s_getpc_b64 s[6:7]
	s_add_u32 s6, s6, __ockl_fprintf_append_string_n@rel32@lo+4
	s_addc_u32 s7, s7, __ockl_fprintf_append_string_n@rel32@hi+12
	s_swappc_b64 s[30:31], s[6:7]
	s_trap 2
.Lfunc_end3:
	.size	__assert_fail, .Lfunc_end3-__assert_fail
                                        ; -- End function
	.section	.AMDGPU.csdata,"",@progbits
; Function info:
; codeLenInByte = 15360
; NumSgprs: 38
; NumVgprs: 41
; NumAgprs: 0
; TotalNumVgprs: 41
; ScratchSize: 64
; MemoryBound: 0
	.text
	.p2align	2                               ; -- Begin function _ZN12_GLOBAL__N_17runRingIa7FuncSumIaE11ProtoSimpleILi2ELi2ELi0ELi1ELi0ELi0EELi0ELi1ELi0ELb0EEEviiP15ncclDevWorkColl
	.type	_ZN12_GLOBAL__N_17runRingIa7FuncSumIaE11ProtoSimpleILi2ELi2ELi0ELi1ELi0ELi0EELi0ELi1ELi0ELb0EEEviiP15ncclDevWorkColl,@function
_ZN12_GLOBAL__N_17runRingIa7FuncSumIaE11ProtoSimpleILi2ELi2ELi0ELi1ELi0ELi0EELi0ELi1ELi0ELb0EEEviiP15ncclDevWorkColl: ; @_ZN12_GLOBAL__N_17runRingIa7FuncSumIaE11ProtoSimpleILi2ELi2ELi0ELi1ELi0ELi0EELi0ELi1ELi0ELb0EEEviiP15ncclDevWorkColl
; %bb.0:
	s_waitcnt vmcnt(0) expcnt(0) lgkmcnt(0)
	s_mov_b32 s4, s33
	s_mov_b32 s33, s32
	s_or_saveexec_b64 s[6:7], -1
	buffer_store_dword v63, off, s[0:3], s33 offset:48 ; 4-byte Folded Spill
	s_mov_b64 exec, s[6:7]
	v_writelane_b32 v63, s4, 46
	v_accvgpr_write_b32 a25, v40            ;  Reload Reuse
	s_addk_i32 s32, 0x1000
	v_accvgpr_write_b32 a30, v41            ;  Reload Reuse
	v_accvgpr_write_b32 a31, v42            ;  Reload Reuse
	buffer_store_dword v43, off, s[0:3], s33 offset:44 ; 4-byte Folded Spill
	buffer_store_dword v44, off, s[0:3], s33 offset:40 ; 4-byte Folded Spill
	;; [unrolled: 1-line block ×11, first 2 shown]
	buffer_store_dword v62, off, s[0:3], s33 ; 4-byte Folded Spill
	v_writelane_b32 v63, s34, 0
	v_writelane_b32 v63, s35, 1
	;; [unrolled: 1-line block ×46, first 2 shown]
	s_trap 2
	flat_load_dword v6, v[2:3]
	flat_load_dwordx4 v[20:23], v[2:3] offset:72
	flat_load_dwordx2 v[12:13], v[2:3] offset:88
	ds_read_b32 v4, v0
	ds_read_b64 a[4:5], v0
	v_mov_b32_e32 v24, v1
                                        ; implicit-def: $vgpr16_vgpr17
                                        ; implicit-def: $agpr6_agpr7
	s_waitcnt lgkmcnt(0)
	v_readfirstlane_b32 s70, v4
	s_waitcnt vmcnt(0)
	v_not_b32_sdwa v5, v6 dst_sel:DWORD dst_unused:UNUSED_PAD src0_sel:BYTE_0
	v_add_u32_sdwa v1, v6, v5 dst_sel:DWORD dst_unused:UNUSED_PAD src0_sel:BYTE_1 src1_sel:DWORD
	v_ashrrev_i32_e32 v7, 31, v1
	v_mul_lo_u32 v8, v23, v1
	v_mad_u64_u32 v[14:15], s[4:5], v22, v1, 0
	v_mul_lo_u32 v1, v22, v7
	v_add3_u32 v1, v15, v1, v8
	v_cmp_ne_u32_sdwa s[4:5], v6, v4 src0_sel:BYTE_0 src1_sel:DWORD
	s_and_saveexec_b64 s[6:7], s[4:5]
	s_xor_b64 s[4:5], exec, s[6:7]
	s_cbranch_execz .LBB4_6
; %bb.1:
	v_cmp_ne_u32_sdwa s[6:7], v6, v4 src0_sel:BYTE_1 src1_sel:DWORD
                                        ; implicit-def: $vgpr16_vgpr17
                                        ; implicit-def: $agpr6_agpr7
	s_and_saveexec_b64 s[10:11], s[6:7]
	s_xor_b64 s[6:7], exec, s[10:11]
	s_cbranch_execz .LBB4_3
; %bb.2:
	flat_load_dwordx2 v[6:7], v[2:3] offset:96
	v_add_u32_e32 v4, v4, v5
	v_ashrrev_i32_e32 v5, 31, v4
	v_mul_lo_u32 v5, v22, v5
	v_mul_lo_u32 v8, v23, v4
	v_mad_u64_u32 v[10:11], s[10:11], v22, v4, v[20:21]
	v_add3_u32 v11, v8, v11, v5
	v_accvgpr_write_b32 a6, v10
	v_accvgpr_write_b32 a7, v11
	s_waitcnt vmcnt(0) lgkmcnt(0)
	v_lshrrev_b64 v[16:17], 21, v[6:7]
.LBB4_3:
	s_andn2_saveexec_b64 s[6:7], s[6:7]
	s_cbranch_execz .LBB4_5
; %bb.4:
	flat_load_dword v4, v[2:3] offset:100
	v_add_co_u32_e32 v6, vcc, v14, v20
	v_addc_co_u32_e32 v7, vcc, v1, v21, vcc
	v_accvgpr_write_b32 a6, v6
	v_accvgpr_write_b32 a7, v7
	v_pk_mov_b32 v[22:23], v[12:13], v[12:13] op_sel:[0,1]
	s_waitcnt vmcnt(0) lgkmcnt(0)
	v_lshrrev_b32_e32 v16, 10, v4
.LBB4_5:
	s_or_b64 exec, exec, s[6:7]
.LBB4_6:
	s_andn2_saveexec_b64 s[4:5], s[4:5]
	s_cbranch_execz .LBB4_8
; %bb.7:
	flat_load_dwordx2 v[16:17], v[2:3] offset:96
	v_pk_mov_b32 v[4:5], 0, 0
	v_accvgpr_write_b32 a7, v5
	v_accvgpr_write_b32 a6, v4
	v_pk_mov_b32 v[22:23], v[20:21], v[20:21] op_sel:[0,1]
.LBB4_8:
	s_or_b64 exec, exec, s[4:5]
	flat_load_dwordx4 v[48:51], v[2:3] offset:16
	v_add_co_u32_e32 v4, vcc, v12, v20
	v_addc_co_u32_e32 v5, vcc, v13, v21, vcc
	v_add_co_u32_e32 v18, vcc, v4, v14
	v_addc_co_u32_e32 v1, vcc, v5, v1, vcc
	v_accvgpr_write_b32 a14, v1
	v_cmp_ge_i32_e32 vcc, v0, v24
	s_and_saveexec_b64 s[4:5], vcc
	s_xor_b64 s[4:5], exec, s[4:5]
	s_cbranch_execz .LBB4_43
; %bb.9:
	v_accvgpr_read_b32 v2, a4
	v_accvgpr_read_b32 v3, a5
	flat_load_dword v1, v[2:3]
	v_accvgpr_read_b32 v2, a14
	s_waitcnt vmcnt(0) lgkmcnt(0)
	v_ashrrev_i32_e32 v3, 31, v1
	v_mul_lo_u32 v2, v2, v1
	v_mul_lo_u32 v3, v18, v3
	v_mad_u64_u32 v[4:5], s[6:7], v18, v1, v[48:49]
	v_add3_u32 v5, v2, v5, v3
	v_cmp_ne_u64_e32 vcc, v[50:51], v[4:5]
	s_and_saveexec_b64 s[6:7], vcc
	s_cbranch_execz .LBB4_42
; %bb.10:
	v_mad_u64_u32 v[4:5], s[10:11], v18, v1, 0
	v_add3_u32 v1, v5, v3, v2
	v_accvgpr_read_b32 v2, a6
	v_accvgpr_read_b32 v3, a7
	v_add_co_u32_e32 v18, vcc, v50, v2
	v_addc_co_u32_e32 v19, vcc, v51, v3, vcc
	v_add_co_u32_e32 v2, vcc, v48, v2
	v_addc_co_u32_e32 v3, vcc, v49, v3, vcc
	v_add_co_u32_e32 v20, vcc, v2, v4
	v_sub_u32_e32 v4, v0, v24
	v_ashrrev_i32_e32 v0, 31, v4
	v_lshrrev_b32_e32 v0, 26, v0
	v_add_u32_e32 v0, v4, v0
	v_addc_co_u32_e32 v21, vcc, v3, v1, vcc
	v_and_b32_e32 v1, 0xffffffc0, v0
	v_sub_u32_e32 v6, v4, v1
	v_cmp_gt_i32_e32 vcc, 1, v6
	v_mov_b32_e32 v1, 0
	s_and_saveexec_b64 s[10:11], vcc
; %bb.11:
	v_or_b32_e32 v1, v18, v20
	v_and_b32_e32 v1, 15, v1
	v_cmp_ne_u32_e32 vcc, 0, v1
	v_cndmask_b32_e64 v1, 0, 1, vcc
; %bb.12:
	s_or_b64 exec, exec, s[10:11]
	v_ashrrev_i32_e32 v7, 6, v0
	;;#ASMSTART
	;;#ASMEND
	v_cmp_ne_u32_e32 vcc, 0, v1
	s_cbranch_vccz .LBB4_14
; %bb.13:
	s_mov_b64 s[18:19], -1
	s_mov_b64 s[14:15], 0
	v_pk_mov_b32 v[8:9], 0, 0
	s_mov_b64 s[10:11], 0
                                        ; implicit-def: $vgpr4_vgpr5
                                        ; implicit-def: $vgpr2_vgpr3
                                        ; implicit-def: $vgpr0_vgpr1
	s_and_saveexec_b64 s[16:17], s[18:19]
	s_cbranch_execnz .LBB4_27
	s_branch .LBB4_36
.LBB4_14:
	v_ashrrev_i32_e32 v0, 31, v23
	v_lshrrev_b32_e32 v0, 22, v0
	v_add_co_u32_e32 v0, vcc, v22, v0
	v_addc_co_u32_e32 v1, vcc, 0, v23, vcc
	v_ashrrev_i64 v[12:13], 10, v[0:1]
	v_and_b32_e32 v0, 0xfffffc00, v0
	v_sub_co_u32_e32 v10, vcc, v22, v0
	v_subb_co_u32_e32 v11, vcc, v23, v1, vcc
	v_mov_b32_e32 v3, 0
	v_cmp_lt_i64_e32 vcc, 15, v[10:11]
	s_and_saveexec_b64 s[10:11], vcc
; %bb.15:
	v_add_co_u32_e32 v12, vcc, 1, v12
	v_and_b32_e32 v2, 15, v22
	v_sub_co_u32_e32 v0, vcc, v0, v2
	v_subbrev_co_u32_e32 v1, vcc, 0, v1, vcc
	v_add_co_u32_e32 v0, vcc, v0, v10
	v_addc_co_u32_e32 v1, vcc, v1, v11, vcc
	v_pk_mov_b32 v[10:11], v[2:3], v[2:3] op_sel:[0,1]
; %bb.16:
	s_or_b64 exec, exec, s[10:11]
	v_lshlrev_b32_e32 v2, 4, v4
	v_ashrrev_i32_e32 v3, 31, v2
	v_sub_co_u32_e32 v4, vcc, v22, v2
	v_subb_co_u32_e32 v5, vcc, v23, v3, vcc
	v_cmp_gt_i64_e32 vcc, 16, v[4:5]
	s_mov_b64 s[18:19], 0
	s_mov_b64 s[10:11], -1
	v_pk_mov_b32 v[8:9], 0, 0
	s_mov_b64 s[14:15], 0
                                        ; implicit-def: $vgpr4_vgpr5
                                        ; implicit-def: $vgpr22_vgpr23
	s_and_saveexec_b64 s[16:17], vcc
	s_cbranch_execz .LBB4_26
; %bb.17:
	v_cmp_ne_u64_e32 vcc, 0, v[10:11]
	v_pk_mov_b32 v[8:9], 0, 0
                                        ; implicit-def: $vgpr4_vgpr5
                                        ; implicit-def: $vgpr22_vgpr23
	s_and_saveexec_b64 s[10:11], vcc
	s_cbranch_execz .LBB4_25
; %bb.18:
	v_ashrrev_i32_e32 v4, 31, v11
	v_lshrrev_b32_e32 v4, 22, v4
	v_add_co_u32_e32 v8, vcc, v10, v4
	v_addc_co_u32_e32 v9, vcc, 0, v11, vcc
	v_and_b32_e32 v4, 0xfffffc00, v8
	v_add_co_u32_e32 v14, vcc, v4, v0
	v_addc_co_u32_e32 v15, vcc, v9, v1, vcc
	v_sub_co_u32_e32 v22, vcc, v10, v4
	v_subb_co_u32_e32 v23, vcc, v11, v9, vcc
	v_mov_b32_e32 v5, 0
	v_ashrrev_i64 v[16:17], 10, v[8:9]
	v_cmp_lt_i64_e32 vcc, 15, v[22:23]
	s_and_saveexec_b64 s[14:15], vcc
; %bb.19:
	v_add_co_u32_e32 v16, vcc, 1, v16
	v_and_b32_e32 v4, 15, v10
	v_sub_co_u32_e32 v8, vcc, v22, v4
	v_subbrev_co_u32_e32 v9, vcc, 0, v23, vcc
	v_add_co_u32_e32 v14, vcc, v8, v14
	v_addc_co_u32_e32 v15, vcc, v9, v15, vcc
	v_pk_mov_b32 v[22:23], v[4:5], v[4:5] op_sel:[0,1]
; %bb.20:
	s_or_b64 exec, exec, s[14:15]
	v_sub_u32_e32 v4, v7, v12
	v_lshl_add_u32 v4, v4, 6, v6
	v_ashrrev_i32_e32 v5, 31, v4
	v_lshrrev_b32_e32 v5, 26, v5
	v_add_u32_e32 v5, v4, v5
	v_ashrrev_i32_e32 v12, 6, v5
	v_and_b32_e32 v5, 0xffffffc0, v5
	v_sub_u32_e32 v13, v4, v5
	v_lshlrev_b32_e32 v4, 4, v13
	v_lshl_add_u32 v4, v12, 10, v4
	v_ashrrev_i32_e32 v5, 31, v4
	v_sub_co_u32_e32 v6, vcc, v10, v4
	v_subb_co_u32_e32 v7, vcc, v11, v5, vcc
	v_cmp_gt_i64_e32 vcc, 16, v[6:7]
	s_mov_b64 s[20:21], -1
	v_pk_mov_b32 v[8:9], 0, 0
                                        ; implicit-def: $vgpr6
                                        ; implicit-def: $vgpr7
	s_and_saveexec_b64 s[14:15], vcc
	s_cbranch_execz .LBB4_24
; %bb.21:
	v_cmp_ne_u64_e32 vcc, 0, v[22:23]
	v_pk_mov_b32 v[8:9], 0, 0
                                        ; implicit-def: $vgpr6
                                        ; implicit-def: $vgpr7
	s_and_saveexec_b64 s[20:21], vcc
; %bb.22:
	v_sub_u32_e32 v6, v12, v16
	v_lshl_add_u32 v6, v6, 6, v13
	v_ashrrev_i32_e32 v7, 31, v6
	v_lshrrev_b32_e32 v7, 26, v7
	v_add_u32_e32 v7, v6, v7
	v_and_b32_e32 v8, 0xffffffc0, v7
	s_mov_b64 s[18:19], exec
	v_sub_u32_e32 v6, v6, v8
	v_ashrrev_i32_e32 v7, 6, v7
	v_pk_mov_b32 v[8:9], v[14:15], v[14:15] op_sel:[0,1]
; %bb.23:
	s_or_b64 exec, exec, s[20:21]
	s_xor_b64 s[20:21], exec, -1
	s_and_b64 s[18:19], s[18:19], exec
.LBB4_24:
	s_or_b64 exec, exec, s[14:15]
	s_and_b64 s[14:15], s[20:21], exec
	s_and_b64 s[18:19], s[18:19], exec
.LBB4_25:
	s_or_b64 exec, exec, s[10:11]
	s_xor_b64 s[10:11], exec, -1
	s_and_b64 s[14:15], s[14:15], exec
	s_and_b64 s[18:19], s[18:19], exec
.LBB4_26:
	s_or_b64 exec, exec, s[16:17]
	s_and_saveexec_b64 s[16:17], s[18:19]
	s_cbranch_execz .LBB4_36
.LBB4_27:
	v_ashrrev_i32_e32 v10, 31, v23
	v_lshrrev_b32_e32 v10, 23, v10
	v_add_co_u32_e32 v10, vcc, v22, v10
	v_addc_co_u32_e32 v11, vcc, 0, v23, vcc
	v_ashrrev_i64 v[12:13], 9, v[10:11]
	v_ashrrev_i32_e32 v11, 31, v7
	v_sub_co_u32_e32 v10, vcc, v12, v7
	v_subb_co_u32_e32 v11, vcc, v13, v11, vcc
	v_cmp_gt_i64_e32 vcc, 1, v[10:11]
	s_and_saveexec_b64 s[18:19], vcc
	s_xor_b64 s[18:19], exec, s[18:19]
	s_cbranch_execz .LBB4_33
; %bb.28:
	v_lshlrev_b64 v[12:13], 9, v[12:13]
	v_cmp_ne_u64_e32 vcc, v[22:23], v[12:13]
	s_and_saveexec_b64 s[20:21], vcc
	s_cbranch_execz .LBB4_32
; %bb.29:
	v_lshlrev_b32_e32 v7, 6, v10
	v_sub_co_u32_e32 v14, vcc, v22, v12
	v_sub_u32_e32 v6, v6, v7
	v_subb_co_u32_e32 v15, vcc, v23, v13, vcc
	v_ashrrev_i32_e32 v7, 31, v6
	v_cmp_gt_i64_e32 vcc, v[14:15], v[6:7]
	s_and_b64 exec, exec, vcc
	s_cbranch_execz .LBB4_32
; %bb.30:
	v_add_co_u32_e32 v8, vcc, v12, v8
	v_addc_co_u32_e32 v9, vcc, v13, v9, vcc
	v_add_co_u32_e32 v8, vcc, v8, v6
	v_addc_co_u32_e32 v9, vcc, v9, v7, vcc
	;; [unrolled: 2-line block ×3, first 2 shown]
	flat_load_ubyte v10, v[6:7]
	v_add_co_u32_e32 v6, vcc, v8, v20
	v_addc_co_u32_e32 v7, vcc, v9, v21, vcc
	s_and_b64 vcc, exec, -1
	s_waitcnt vmcnt(0) lgkmcnt(0)
	flat_store_byte v[6:7], v10 glc slc
.LBB4_31:                               ; =>This Inner Loop Header: Depth=1
	s_mov_b64 vcc, vcc
	s_cbranch_vccnz .LBB4_31
.LBB4_32:
	s_or_b64 exec, exec, s[20:21]
                                        ; implicit-def: $vgpr7
                                        ; implicit-def: $vgpr6
                                        ; implicit-def: $vgpr8_vgpr9
.LBB4_33:
	s_andn2_saveexec_b64 s[18:19], s[18:19]
	s_cbranch_execz .LBB4_36
; %bb.34:
	v_lshl_add_u32 v6, v7, 9, v6
	v_ashrrev_i32_e32 v7, 31, v6
	v_add_co_u32_e32 v8, vcc, v8, v6
	v_addc_co_u32_e32 v9, vcc, v9, v7, vcc
	v_add_co_u32_e32 v6, vcc, v8, v20
	v_addc_co_u32_e32 v7, vcc, v9, v21, vcc
	;; [unrolled: 2-line block ×3, first 2 shown]
	s_and_b64 vcc, exec, 0
.LBB4_35:                               ; =>This Inner Loop Header: Depth=1
	flat_load_ubyte v10, v[8:9] glc slc
	flat_load_ubyte v11, v[8:9] offset:64 glc slc
	flat_load_ubyte v12, v[8:9] offset:128 glc slc
	;; [unrolled: 1-line block ×7, first 2 shown]
	s_waitcnt vmcnt(0) lgkmcnt(0)
	flat_store_byte v[6:7], v10 glc slc
	flat_store_byte v[6:7], v11 offset:64 glc slc
	flat_store_byte v[6:7], v12 offset:128 glc slc
	;; [unrolled: 1-line block ×7, first 2 shown]
	s_mov_b64 vcc, vcc
	s_cbranch_vccz .LBB4_35
.LBB4_36:
	s_or_b64 exec, exec, s[16:17]
	s_and_saveexec_b64 s[16:17], s[14:15]
	s_cbranch_execz .LBB4_39
; %bb.37:
	v_add_co_u32_e32 v4, vcc, v0, v4
	v_addc_co_u32_e32 v5, vcc, v1, v5, vcc
	v_add_co_u32_e32 v0, vcc, v4, v20
	v_addc_co_u32_e32 v1, vcc, v5, v21, vcc
	;; [unrolled: 2-line block ×3, first 2 shown]
	s_and_b64 vcc, exec, 0
.LBB4_38:                               ; =>This Inner Loop Header: Depth=1
	global_load_dwordx4 v[6:9], v[4:5], off glc slc
	s_waitcnt vmcnt(0)
	global_store_dwordx4 v[0:1], v[6:9], off glc slc
	s_mov_b64 vcc, vcc
	s_cbranch_vccz .LBB4_38
.LBB4_39:
	s_or_b64 exec, exec, s[16:17]
	s_and_saveexec_b64 s[14:15], s[10:11]
	s_xor_b64 s[14:15], exec, s[14:15]
	s_cbranch_execz .LBB4_42
; %bb.40:
	v_add_co_u32_e32 v0, vcc, v20, v2
	v_addc_co_u32_e32 v1, vcc, v21, v3, vcc
	v_add_co_u32_e32 v2, vcc, v18, v2
	v_addc_co_u32_e32 v3, vcc, v19, v3, vcc
	s_and_b64 vcc, exec, 0
.LBB4_41:                               ; =>This Inner Loop Header: Depth=1
	global_load_dwordx4 v[4:7], v[2:3], off glc slc
	s_waitcnt vmcnt(0)
	global_store_dwordx4 v[0:1], v[4:7], off glc slc
	s_mov_b64 vcc, vcc
	s_cbranch_vccz .LBB4_41
.LBB4_42:
	s_or_b64 exec, exec, s[6:7]
                                        ; implicit-def: $vgpr22_vgpr23
                                        ; implicit-def: $agpr6_agpr7
                                        ; implicit-def: $vgpr16_vgpr17
                                        ; implicit-def: $vgpr48_vgpr49
                                        ; implicit-def: $vgpr0
                                        ; implicit-def: $vgpr24
                                        ; implicit-def: $agpr4_agpr5
                                        ; implicit-def: $vgpr31
                                        ; implicit-def: $vgpr2_vgpr3
                                        ; implicit-def: $vgpr18
                                        ; implicit-def: $agpr14
.LBB4_43:
	s_andn2_saveexec_b64 s[38:39], s[4:5]
	s_cbranch_execz .LBB4_1049
; %bb.44:
	s_trap 2
	ds_read_b64 v[4:5], v0
	s_waitcnt lgkmcnt(0)
	v_cmp_ne_u32_e32 vcc, -1, v4
	v_cndmask_b32_e64 v7, 0, 1, vcc
	v_cmp_ne_u32_e32 vcc, -1, v5
	v_addc_co_u32_e64 v1, s[4:5], 0, v7, vcc
	v_lshlrev_b32_e32 v4, 1, v1
	v_cmp_le_i32_e64 s[4:5], v4, v24
	s_and_saveexec_b64 s[6:7], s[4:5]
	s_xor_b64 s[40:41], exec, s[6:7]
	s_cbranch_execz .LBB4_1046
; %bb.45:
	flat_load_dwordx2 v[4:5], v[2:3] offset:104
	flat_load_ushort v13, v[2:3] offset:8
	flat_load_dword v12, v[2:3] offset:4
	s_trap 2
	s_load_dword s4, s[8:9], 0x0
	v_mov_b32_e32 v6, 0
	v_mov_b32_e32 v62, 4
	s_waitcnt lgkmcnt(0)
	s_cmp_lt_u32 s12, s4
	s_cselect_b32 s4, 12, 18
	s_add_u32 s4, s8, s4
	s_addc_u32 s5, s9, 0
	global_load_ushort v17, v6, s[4:5]
	ds_read_b32 v6, v0
	v_cmp_ge_i32_e64 s[4:5], v0, v7
	s_waitcnt lgkmcnt(0)
	v_readfirstlane_b32 s18, v6
	s_and_saveexec_b64 s[6:7], s[4:5]
	s_cbranch_execz .LBB4_55
; %bb.46:
	v_cmp_le_u32_e64 s[4:5], v1, v0
                                        ; implicit-def: $vgpr62
	s_and_saveexec_b64 s[10:11], s[4:5]
	s_xor_b64 s[4:5], exec, s[10:11]
	s_cbranch_execz .LBB4_52
; %bb.47:
	v_cndmask_b32_e64 v6, 0, 1, vcc
	v_sub_u32_e32 v6, v24, v6
	v_cmp_ge_u32_e32 vcc, v0, v6
                                        ; implicit-def: $sgpr12
	s_and_saveexec_b64 s[10:11], vcc
	s_xor_b64 s[10:11], exec, s[10:11]
; %bb.48:
	s_mov_b32 s12, 16
                                        ; implicit-def: $vgpr1
; %bb.49:
	s_or_saveexec_b64 s[10:11], s[10:11]
	v_mov_b32_e32 v62, s12
	s_xor_b64 exec, exec, s[10:11]
; %bb.50:
	v_sub_u32_e32 v1, v24, v1
	v_cmp_ge_i32_e32 vcc, v0, v1
	v_cndmask_b32_e64 v1, 0, 1, vcc
	v_lshlrev_b32_e32 v62, 5, v1
; %bb.51:
	s_or_b64 exec, exec, s[10:11]
.LBB4_52:
	s_andn2_saveexec_b64 s[4:5], s[4:5]
; %bb.53:
	v_mov_b32_e32 v62, 8
; %bb.54:
	s_or_b64 exec, exec, s[4:5]
.LBB4_55:
	s_or_b64 exec, exec, s[6:7]
	v_and_b32_e32 v1, 36, v62
	v_cmp_ne_u32_e32 vcc, 0, v1
	v_mov_b32_e32 v14, -1
	s_and_saveexec_b64 s[4:5], vcc
	s_cbranch_execz .LBB4_57
; %bb.56:
	s_trap 2
	ds_read_b32 v14, v0
.LBB4_57:
	s_or_b64 exec, exec, s[4:5]
	v_and_b32_e32 v1, 24, v62
	v_cmp_ne_u32_e64 s[4:5], 0, v1
	s_and_saveexec_b64 s[6:7], s[4:5]
	s_cbranch_execz .LBB4_59
; %bb.58:
	s_trap 2
	s_waitcnt lgkmcnt(0)
	ds_read_b32 v14, v0
.LBB4_59:
	s_or_b64 exec, exec, s[6:7]
	s_waitcnt vmcnt(0)
	v_lshrrev_b64 v[8:9], 31, v[12:13]
	v_pk_mov_b32 v[20:21], 0, 0
	v_and_b32_e32 v1, 3, v8
	v_pk_mov_b32 v[12:13], v[20:21], v[20:21] op_sel:[0,1]
                                        ; implicit-def: $agpr16_agpr17
                                        ; implicit-def: $vgpr30
                                        ; implicit-def: $vgpr26_vgpr27
                                        ; implicit-def: $vgpr32_vgpr33
                                        ; implicit-def: $vgpr38_vgpr39
                                        ; implicit-def: $vgpr28_vgpr29
	s_and_saveexec_b64 s[4:5], vcc
	s_cbranch_execz .LBB4_69
; %bb.60:
	s_trap 2
	ds_read_b64 v[8:9], v0
	s_waitcnt lgkmcnt(1)
	v_ashrrev_i32_e32 v15, 31, v14
	v_lshlrev_b64 v[10:11], 3, v[14:15]
	v_and_b32_e32 v6, 0xffff, v1
	s_movk_i32 s6, 0xa8
	s_waitcnt lgkmcnt(0)
	v_add_co_u32_e32 v8, vcc, v8, v10
	v_addc_co_u32_e32 v9, vcc, v9, v11, vcc
	flat_load_dwordx2 v[8:9], v[8:9]
                                        ; implicit-def: $agpr16_agpr17
	s_waitcnt vmcnt(0) lgkmcnt(0)
	v_mad_u64_u32 v[8:9], s[6:7], v6, s6, v[8:9]
	flat_load_dword v6, v[8:9] offset:640
	v_add_co_u32_e32 v20, vcc, 0x1f8, v8
	v_addc_co_u32_e32 v21, vcc, 0, v9, vcc
	s_waitcnt vmcnt(0) lgkmcnt(0)
	v_cmp_eq_u32_e32 vcc, 1, v6
	s_and_saveexec_b64 s[6:7], vcc
	s_cbranch_execz .LBB4_62
; %bb.61:
	flat_load_dwordx2 v[10:11], v[20:21] offset:144
	v_or_b32_e32 v62, 0x2000, v62
	s_waitcnt vmcnt(0) lgkmcnt(0)
	flat_load_dwordx2 v[8:9], v[10:11]
	s_trap 2
	v_accvgpr_write_b32 a17, v11
	v_accvgpr_write_b32 a16, v10
	s_waitcnt vmcnt(0) lgkmcnt(0)
	ds_write_b64 v0, v[8:9]
	flat_load_dwordx2 v[8:9], v[10:11] offset:8
	s_waitcnt vmcnt(0) lgkmcnt(0)
	ds_write_b64 v0, v[8:9]
	flat_load_dwordx2 v[8:9], v[10:11] offset:16
	s_waitcnt vmcnt(0) lgkmcnt(0)
	ds_write_b64 v0, v[8:9]
.LBB4_62:
	s_or_b64 exec, exec, s[6:7]
	flat_load_dwordx2 v[8:9], v[20:21] offset:104
	v_and_b32_e32 v6, 32, v62
                                        ; implicit-def: $vgpr28_vgpr29
	s_waitcnt vmcnt(0) lgkmcnt(0)
	v_add_co_u32_e32 v8, vcc, 3, v8
	v_addc_co_u32_e32 v27, vcc, 0, v9, vcc
	v_and_b32_e32 v26, -4, v8
	v_cmp_ne_u32_e32 vcc, 0, v6
	s_and_saveexec_b64 s[6:7], vcc
	s_cbranch_execz .LBB4_64
; %bb.63:
	flat_load_dwordx2 v[28:29], v[20:21] offset:56
	s_waitcnt vmcnt(0) lgkmcnt(0)
	flat_store_dwordx2 v[28:29], v[26:27]
.LBB4_64:
	s_or_b64 exec, exec, s[6:7]
	v_and_b32_e32 v6, 4, v62
	v_cmp_ne_u32_e32 vcc, 0, v6
	v_pk_mov_b32 v[12:13], 0, 0
                                        ; implicit-def: $vgpr30
                                        ; implicit-def: $vgpr32_vgpr33
                                        ; implicit-def: $vgpr38_vgpr39
	s_and_saveexec_b64 s[6:7], vcc
	s_cbranch_execz .LBB4_68
; %bb.65:
	v_and_b32_e32 v6, 0x800, v62
	v_cmp_eq_u32_e32 vcc, 0, v6
	s_and_saveexec_b64 s[10:11], vcc
	s_cbranch_execz .LBB4_67
; %bb.66:
	s_trap 2
	ds_write_b64 v0, v[20:21]
.LBB4_67:
	s_or_b64 exec, exec, s[10:11]
	flat_load_dwordx2 v[28:29], v[20:21] offset:48
	v_or_b32_e32 v6, 0x100, v62
	s_waitcnt vmcnt(0) lgkmcnt(0)
	flat_load_dwordx2 v[38:39], v[28:29] glc
	flat_load_dwordx2 v[12:13], v[20:21] offset:96
	flat_load_dword v30, v[20:21] offset:72
	flat_load_dwordx2 v[32:33], v[20:21] offset:16
	s_waitcnt vmcnt(0) lgkmcnt(0)
	v_cmp_eq_u64_e32 vcc, 0, v[12:13]
	v_cndmask_b32_e32 v62, v6, v62, vcc
.LBB4_68:
	s_or_b64 exec, exec, s[6:7]
.LBB4_69:
	s_or_b64 exec, exec, s[4:5]
	v_and_b32_e32 v6, 24, v62
	v_cmp_ne_u32_e32 vcc, 0, v6
                                        ; implicit-def: $vgpr36_vgpr37
	s_and_saveexec_b64 s[4:5], vcc
	s_cbranch_execz .LBB4_77
; %bb.70:
	s_trap 2
	ds_read_b64 v[8:9], v0
	s_waitcnt lgkmcnt(0)
	v_ashrrev_i32_e32 v15, 31, v14
	v_lshlrev_b64 v[10:11], 3, v[14:15]
	v_and_b32_e32 v1, 0xffff, v1
	s_movk_i32 s6, 0xa8
	v_add_co_u32_e32 v8, vcc, v8, v10
	v_addc_co_u32_e32 v9, vcc, v9, v11, vcc
	flat_load_dwordx2 v[8:9], v[8:9]
                                        ; implicit-def: $vgpr36_vgpr37
	s_waitcnt vmcnt(0) lgkmcnt(0)
	v_mad_u64_u32 v[20:21], s[6:7], v1, s6, v[8:9]
	flat_load_dwordx4 v[12:15], v[20:21] offset:96
	v_or_b32_e32 v1, 0x100, v62
	s_waitcnt vmcnt(0) lgkmcnt(0)
	v_cmp_eq_u64_e32 vcc, 0, v[12:13]
	v_cndmask_b32_e32 v62, v1, v62, vcc
	v_and_b32_e32 v1, 16, v62
	v_cmp_ne_u32_e32 vcc, 0, v1
	s_and_saveexec_b64 s[6:7], vcc
	s_cbranch_execz .LBB4_72
; %bb.71:
	flat_load_dwordx2 v[36:37], v[20:21] offset:120
	flat_load_dwordx2 v[28:29], v[20:21] offset:48
	;; [unrolled: 1-line block ×3, first 2 shown]
.LBB4_72:
	s_or_b64 exec, exec, s[6:7]
	v_add_co_u32_e32 v1, vcc, 3, v14
	v_addc_co_u32_e32 v27, vcc, 0, v15, vcc
	v_and_b32_e32 v26, -4, v1
	v_and_b32_e32 v1, 8, v62
	v_cmp_ne_u32_e32 vcc, 0, v1
	s_and_saveexec_b64 s[6:7], vcc
	s_cbranch_execz .LBB4_76
; %bb.73:
	v_and_b32_e32 v1, 0x800, v62
	v_cmp_eq_u32_e32 vcc, 0, v1
	s_and_saveexec_b64 s[10:11], vcc
	s_cbranch_execz .LBB4_75
; %bb.74:
	s_trap 2
	ds_write_b64 v0, v[20:21]
.LBB4_75:
	s_or_b64 exec, exec, s[10:11]
	s_waitcnt vmcnt(0) lgkmcnt(0)
	flat_load_dwordx2 v[28:29], v[20:21] offset:56
	s_waitcnt vmcnt(0) lgkmcnt(0)
	flat_load_dwordx2 v[38:39], v[28:29] glc
	flat_load_dword v30, v[20:21] offset:72
	flat_load_dwordx2 v[32:33], v[20:21] offset:16
.LBB4_76:
	s_or_b64 exec, exec, s[6:7]
.LBB4_77:
	s_or_b64 exec, exec, s[4:5]
	v_cmp_eq_u32_e64 s[4:5], 0, v0
	s_and_saveexec_b64 s[6:7], s[4:5]
	s_cbranch_execz .LBB4_79
; %bb.78:
	flat_load_dwordx2 v[8:9], v[2:3] offset:32
	v_mov_b32_e32 v10, v50
	v_mov_b32_e32 v11, v51
	s_waitcnt lgkmcnt(0)
	v_mov_b32_e32 v14, v48
	v_mov_b32_e32 v15, v49
	ds_write2_b64 v0, v[10:11], v[14:15] offset1:1
	s_trap 2
	s_waitcnt vmcnt(0)
	ds_write_b64 v0, v[8:9]
	ds_write_b64 v0, v[4:5]
.LBB4_79:
	s_or_b64 exec, exec, s[6:7]
	s_mov_b64 s[44:45], 0
	v_cmp_ne_u64_e32 vcc, 0, v[22:23]
	v_pk_mov_b32 v[34:35], 0, 0
	s_and_saveexec_b64 s[42:43], vcc
	s_cbranch_execz .LBB4_1010
; %bb.80:
	flat_load_dword v1, v[2:3] offset:4
	v_accvgpr_write_b32 a10, v48
	v_accvgpr_write_b32 a11, v49
	;; [unrolled: 1-line block ×4, first 2 shown]
	v_lshrrev_b32_e32 v50, 6, v24
	v_mov_b32_e32 v8, 0xfffffe00
	v_lshlrev_b32_e32 v4, 9, v16
	s_waitcnt vmcnt(0) lgkmcnt(0)
	v_ashrrev_i32_e32 v9, 31, v30
	s_movk_i32 s20, 0x200
	v_lshl_add_u32 v8, v50, 9, v8
	v_accvgpr_write_b32 a18, v20
	v_cvt_f64_u32_e32 v[2:3], 0
	s_ashr_i32 s16, s18, 31
	v_and_b32_e32 v5, 63, v31
	v_accvgpr_write_b32 a15, v9
	v_ashrrev_i32_e32 v6, 31, v0
	v_and_b32_e32 v25, 0xffffffc0, v24
	v_and_b32_e32 v4, 0x3ffffe00, v4
	v_ashrrev_i32_e32 v9, 31, v8
	v_add_co_u32_e32 v40, vcc, s20, v8
	v_accvgpr_write_b32 a19, v21
	v_ldexp_f64 v[2:3], v[2:3], 32
	s_lshr_b32 s21, s16, 25
	v_cmp_eq_u32_e64 s[16:17], 0, v5
	v_lshrrev_b32_e32 v6, 26, v6
	v_subrev_u32_e32 v42, 64, v25
	v_accvgpr_write_b32 a22, v4
	v_cvt_f64_u32_e32 v[4:5], v4
	v_addc_co_u32_e32 v20, vcc, 0, v9, vcc
	v_lshlrev_b32_e32 v47, 10, v50
	s_add_i32 s18, s18, s21
	v_add_u32_e32 v6, v0, v6
	v_ashrrev_i32_e32 v41, 31, v42
	v_add_f64 v[2:3], v[2:3], v[4:5]
	v_add_co_u32_e32 v21, vcc, 64, v42
	s_movk_i32 s19, 0x400
	v_add_u32_e32 v44, 0xfffffc00, v47
	s_ashr_i32 s74, s18, 7
	v_and_b32_e32 v4, 0xffffffc0, v6
	v_ashrrev_i32_e32 v5, 6, v6
	v_addc_co_u32_e32 v8, vcc, 0, v41, vcc
	v_max_f64 v[2:3], v[2:3], v[2:3]
	v_lshlrev_b32_e32 v52, 4, v0
	v_pk_mov_b32 v[54:55], 0, 0
	v_ashrrev_i32_e32 v43, 31, v44
	v_sub_u32_e32 v4, v0, v4
	v_sub_u32_e32 v5, 0, v5
	v_add_co_u32_e32 v11, vcc, s19, v44
	s_cmp_gt_i32 s70, 2
	v_accvgpr_write_b32 a27, v3
	v_accvgpr_write_b32 a9, v18
	v_mov_b32_e32 v49, 0
	v_accvgpr_write_b32 a1, v31
	v_cmp_eq_u32_e64 s[6:7], 64, v24
	v_cmp_ne_u32_e64 s[10:11], 64, v24
	v_accvgpr_write_b32 a8, v17
	v_cmp_ne_u32_sdwa s[46:47], v17, v24 src0_sel:WORD_0 src1_sel:DWORD
	s_movk_i32 s71, 0xffc0
	v_accvgpr_write_b32 a0, v24
	v_cmp_eq_u64_e64 s[12:13], 0, v[36:37]
	v_cmp_ne_u64_e64 s[14:15], 0, v[36:37]
	s_movk_i32 s72, 0x270e
	v_mov_b32_e32 v46, 1
	s_movk_i32 s73, 0x108
	v_ashrrev_i32_e32 v53, 31, v52
	v_accvgpr_write_b32 a24, v5
	v_addc_co_u32_e32 v6, vcc, 0, v43, vcc
	v_accvgpr_write_b32 a26, v2
	v_cmp_gt_i32_e64 s[18:19], 1, v4
	v_cmp_le_i32_e64 s[20:21], v4, v7
	v_accvgpr_write_b32 a23, v4
	v_cmp_lt_i32_e64 s[22:23], v4, v7
	s_cselect_b64 s[48:49], -1, 0
	v_and_b32_e32 v1, 1, v1
	v_cmp_eq_u32_e64 s[24:25], 1, v1
	s_add_i32 s75, s70, -2
	s_xor_b64 s[50:51], s[24:25], -1
	v_pk_mov_b32 v[34:35], v[54:55], v[54:55] op_sel:[0,1]
	s_trap 2
	s_branch .LBB4_83
.LBB4_81:                               ;   in Loop: Header=BB4_83 Depth=1
	s_or_b64 exec, exec, s[30:31]
.LBB4_82:                               ;   in Loop: Header=BB4_83 Depth=1
	s_or_b64 exec, exec, s[28:29]
	v_accvgpr_read_b32 v2, a22
	v_add_co_u32_e32 v54, vcc, v54, v2
	v_accvgpr_read_b32 v23, a3
	v_addc_co_u32_e32 v55, vcc, 0, v55, vcc
	v_accvgpr_read_b32 v22, a2
	v_cmp_ge_u64_e32 vcc, v[54:55], v[22:23]
	s_or_b64 s[44:45], vcc, s[44:45]
	s_andn2_b64 exec, exec, s[44:45]
	s_cbranch_execz .LBB4_1009
.LBB4_83:                               ; =>This Loop Header: Depth=1
                                        ;     Child Loop BB4_88 Depth 2
                                        ;       Child Loop BB4_96 Depth 3
                                        ;       Child Loop BB4_120 Depth 3
	;; [unrolled: 1-line block ×4, first 2 shown]
                                        ;         Child Loop BB4_161 Depth 4
                                        ;       Child Loop BB4_167 Depth 3
                                        ;         Child Loop BB4_168 Depth 4
                                        ;       Child Loop BB4_175 Depth 3
                                        ;       Child Loop BB4_180 Depth 3
                                        ;         Child Loop BB4_181 Depth 4
                                        ;       Child Loop BB4_194 Depth 3
                                        ;       Child Loop BB4_199 Depth 3
	;; [unrolled: 1-line block ×6, first 2 shown]
                                        ;     Child Loop BB4_403 Depth 2
                                        ;       Child Loop BB4_409 Depth 3
                                        ;       Child Loop BB4_433 Depth 3
	;; [unrolled: 1-line block ×3, first 2 shown]
                                        ;     Child Loop BB4_263 Depth 2
                                        ;       Child Loop BB4_271 Depth 3
                                        ;       Child Loop BB4_295 Depth 3
	;; [unrolled: 1-line block ×9, first 2 shown]
                                        ;     Child Loop BB4_475 Depth 2
                                        ;       Child Loop BB4_481 Depth 3
                                        ;       Child Loop BB4_505 Depth 3
	;; [unrolled: 1-line block ×3, first 2 shown]
                                        ;     Child Loop BB4_546 Depth 2
                                        ;       Child Loop BB4_549 Depth 3
                                        ;         Child Loop BB4_557 Depth 4
                                        ;         Child Loop BB4_583 Depth 4
	;; [unrolled: 1-line block ×4, first 2 shown]
                                        ;           Child Loop BB4_624 Depth 5
                                        ;         Child Loop BB4_630 Depth 4
                                        ;           Child Loop BB4_631 Depth 5
                                        ;         Child Loop BB4_638 Depth 4
                                        ;         Child Loop BB4_643 Depth 4
                                        ;           Child Loop BB4_644 Depth 5
                                        ;         Child Loop BB4_657 Depth 4
                                        ;         Child Loop BB4_662 Depth 4
	;; [unrolled: 1-line block ×6, first 2 shown]
                                        ;       Child Loop BB4_725 Depth 3
                                        ;         Child Loop BB4_731 Depth 4
                                        ;         Child Loop BB4_769 Depth 4
	;; [unrolled: 1-line block ×3, first 2 shown]
                                        ;     Child Loop BB4_806 Depth 2
                                        ;       Child Loop BB4_814 Depth 3
                                        ;       Child Loop BB4_838 Depth 3
                                        ;       Child Loop BB4_857 Depth 3
                                        ;       Child Loop BB4_898 Depth 3
                                        ;       Child Loop BB4_903 Depth 3
                                        ;       Child Loop BB4_877 Depth 3
                                        ;       Child Loop BB4_882 Depth 3
                                        ;       Child Loop BB4_892 Depth 3
                                        ;       Child Loop BB4_927 Depth 3
                                        ;     Child Loop BB4_943 Depth 2
                                        ;       Child Loop BB4_949 Depth 3
                                        ;       Child Loop BB4_973 Depth 3
	;; [unrolled: 1-line block ×3, first 2 shown]
	v_sub_co_u32_e32 v1, vcc, v22, v54
	v_subb_co_u32_e32 v2, vcc, v23, v55, vcc
	v_cvt_f64_u32_e32 v[2:3], v2
	v_ldexp_f64 v[2:3], v[2:3], 32
	v_cvt_f64_u32_e32 v[4:5], v1
	v_add_f64 v[2:3], v[2:3], v[4:5]
	v_accvgpr_read_b32 v4, a26
	v_accvgpr_read_b32 v5, a27
	v_min_f64 v[2:3], v[4:5], v[2:3]
	v_cvt_i32_f64_e32 v1, v[2:3]
	v_accvgpr_read_b32 v2, a6
	v_accvgpr_read_b32 v3, a7
	v_add_co_u32_e32 v18, vcc, v54, v2
	v_addc_co_u32_e32 v19, vcc, v55, v3, vcc
	v_accvgpr_read_b32 v2, a4
	v_accvgpr_read_b32 v3, a5
	flat_load_dword v2, v[2:3]
	v_accvgpr_read_b32 v17, a13
	v_accvgpr_read_b32 v4, a14
	;; [unrolled: 1-line block ×6, first 2 shown]
	v_max_i32_e32 v7, 0, v1
	v_accvgpr_write_b32 a2, v22
	v_accvgpr_write_b32 a29, v19
	;; [unrolled: 1-line block ×4, first 2 shown]
	s_waitcnt vmcnt(0) lgkmcnt(0)
	v_ashrrev_i32_e32 v3, 31, v2
	v_mul_lo_u32 v4, v4, v2
	v_mul_lo_u32 v3, v5, v3
	v_mad_u64_u32 v[60:61], s[26:27], v5, v2, v[18:19]
	v_add_co_u32_e32 v2, vcc, v16, v18
	v_add3_u32 v61, v4, v61, v3
	v_addc_co_u32_e32 v3, vcc, v17, v19, vcc
	v_add_co_u32_e32 v4, vcc, v14, v60
	v_addc_co_u32_e32 v5, vcc, v15, v61, vcc
	v_cmp_ne_u64_e32 vcc, v[2:3], v[4:5]
	v_add_u32_e32 v2, 31, v7
	v_ashrrev_i32_e32 v3, 31, v2
	v_lshrrev_b32_e32 v3, 27, v3
	v_add_u32_e32 v2, v2, v3
	v_ashrrev_i32_e32 v2, 5, v2
	v_lshlrev_b32_e32 v2, 4, v2
	v_max_i32_e32 v24, s74, v2
	v_cmp_lt_i32_e64 s[26:27], 0, v1
	s_mov_b64 s[28:29], exec
	s_and_b64 vcc, s[28:29], vcc
	v_accvgpr_write_b32 a20, v54
	s_xor_b64 s[52:53], vcc, s[28:29]
	v_accvgpr_write_b32 a21, v55
	s_mov_b64 exec, vcc
	s_cbranch_execz .LBB4_258
; %bb.84:                               ;   in Loop: Header=BB4_83 Depth=1
	v_mov_b32_e32 v1, 0
	v_mov_b32_e32 v58, v24
	;; [unrolled: 1-line block ×3, first 2 shown]
	s_and_saveexec_b64 s[54:55], s[26:27]
	s_cbranch_execz .LBB4_399
; %bb.85:                               ;   in Loop: Header=BB4_83 Depth=1
	s_mov_b32 s76, 1
	s_mov_b64 s[58:59], -1
	s_mov_b64 s[56:57], 0
	v_mov_b32_e32 v31, 0
	v_mov_b32_e32 v58, v24
	s_branch .LBB4_88
.LBB4_86:                               ;   in Loop: Header=BB4_88 Depth=2
	s_or_b64 exec, exec, vcc
	v_add_co_u32_e32 v26, vcc, 2, v26
	v_addc_co_u32_e32 v27, vcc, 0, v27, vcc
	flat_store_dwordx2 v[28:29], v[26:27]
.LBB4_87:                               ;   in Loop: Header=BB4_88 Depth=2
	s_or_b64 exec, exec, s[28:29]
	v_add_u32_e32 v31, v58, v31
	v_cmp_ge_i32_e32 vcc, v31, v7
	s_xor_b64 s[28:29], s[58:59], -1
	s_or_b64 s[28:29], s[28:29], vcc
	s_and_b64 s[28:29], exec, s[28:29]
	s_or_b64 s[56:57], s[28:29], s[56:57]
	s_mov_b64 s[58:59], 0
	v_mov_b32_e32 v1, s76
	s_mov_b32 s76, 2
	s_andn2_b64 exec, exec, s[56:57]
	s_cbranch_execz .LBB4_398
.LBB4_88:                               ;   Parent Loop BB4_83 Depth=1
                                        ; =>  This Loop Header: Depth=2
                                        ;       Child Loop BB4_96 Depth 3
                                        ;       Child Loop BB4_120 Depth 3
	;; [unrolled: 1-line block ×4, first 2 shown]
                                        ;         Child Loop BB4_161 Depth 4
                                        ;       Child Loop BB4_167 Depth 3
                                        ;         Child Loop BB4_168 Depth 4
                                        ;       Child Loop BB4_175 Depth 3
                                        ;       Child Loop BB4_180 Depth 3
                                        ;         Child Loop BB4_181 Depth 4
                                        ;       Child Loop BB4_194 Depth 3
                                        ;       Child Loop BB4_199 Depth 3
	;; [unrolled: 1-line block ×6, first 2 shown]
	s_and_saveexec_b64 s[28:29], s[4:5]
	s_cbranch_execz .LBB4_90
; %bb.89:                               ;   in Loop: Header=BB4_88 Depth=2
	s_trap 2
	ds_read2_b64 v[2:5], v0 offset1:1
	ds_read_b64 v[14:15], v0
	v_accvgpr_read_b32 v16, a28
	v_accvgpr_read_b32 v17, a29
	v_ashrrev_i32_e32 v9, 31, v31
	s_waitcnt lgkmcnt(0)
	v_add_co_u32_e32 v1, vcc, v2, v16
	v_addc_co_u32_e32 v3, vcc, v3, v17, vcc
	v_add_co_u32_e32 v2, vcc, v1, v31
	v_addc_co_u32_e32 v3, vcc, v3, v9, vcc
	v_add_co_u32_e32 v1, vcc, v4, v60
	ds_write_b64 v0, v[2:3]
	v_addc_co_u32_e32 v3, vcc, v5, v61, vcc
	v_add_co_u32_e32 v2, vcc, v1, v31
	v_addc_co_u32_e32 v3, vcc, v3, v9, vcc
	s_waitcnt lgkmcnt(1)
	v_add_co_u32_e32 v1, vcc, v14, v60
	ds_write_b64 v0, v[2:3]
	v_addc_co_u32_e32 v2, vcc, v15, v61, vcc
	v_add_co_u32_e32 v1, vcc, v1, v31
	v_addc_co_u32_e32 v2, vcc, v2, v9, vcc
	v_cmp_ne_u64_e32 vcc, 0, v[14:15]
	v_cndmask_b32_e32 v3, 0, v2, vcc
	v_cndmask_b32_e32 v2, 0, v1, vcc
	ds_write_b64 v0, v[2:3]
.LBB4_90:                               ;   in Loop: Header=BB4_88 Depth=2
	s_or_b64 exec, exec, s[28:29]
	v_and_b32_e32 v1, 8, v62
	v_cmp_ne_u32_e32 vcc, 0, v1
	s_mov_b64 s[30:31], -1
	s_and_saveexec_b64 s[28:29], vcc
	s_cbranch_execz .LBB4_102
; %bb.91:                               ;   in Loop: Header=BB4_88 Depth=2
	v_add_co_u32_e32 v4, vcc, 8, v38
	v_addc_co_u32_e32 v5, vcc, 0, v39, vcc
	v_add_co_u32_e32 v2, vcc, 2, v26
	v_addc_co_u32_e32 v3, vcc, 0, v27, vcc
	v_cmp_lt_u64_e32 vcc, v[4:5], v[2:3]
	v_mov_b32_e32 v1, 1
	s_and_saveexec_b64 s[30:31], vcc
	s_cbranch_execz .LBB4_101
; %bb.92:                               ;   in Loop: Header=BB4_88 Depth=2
	s_mov_b64 s[34:35], 0
	v_mov_b32_e32 v1, 0
                                        ; implicit-def: $sgpr36_sgpr37
	s_branch .LBB4_96
.LBB4_93:                               ;   in Loop: Header=BB4_96 Depth=3
	s_or_b64 exec, exec, s[66:67]
	v_mov_b32_e32 v4, 0
	s_orn2_b64 s[64:65], s[64:65], exec
.LBB4_94:                               ;   in Loop: Header=BB4_96 Depth=3
	s_or_b64 exec, exec, s[62:63]
	s_andn2_b64 vcc, s[36:37], exec
	s_and_b64 s[36:37], s[64:65], exec
	s_or_b64 s[36:37], vcc, s[36:37]
	v_mov_b32_e32 v1, v4
.LBB4_95:                               ;   in Loop: Header=BB4_96 Depth=3
	s_or_b64 exec, exec, s[60:61]
	s_waitcnt vmcnt(0) lgkmcnt(0)
	v_add_co_u32_e32 v4, vcc, 8, v38
	v_addc_co_u32_e32 v5, vcc, 0, v39, vcc
	v_cmp_ge_u64_e32 vcc, v[4:5], v[2:3]
	s_xor_b64 s[60:61], s[36:37], -1
	s_or_b64 vcc, s[60:61], vcc
	s_and_b64 vcc, exec, vcc
	s_or_b64 s[34:35], vcc, s[34:35]
	s_andn2_b64 exec, exec, s[34:35]
	s_cbranch_execz .LBB4_100
.LBB4_96:                               ;   Parent Loop BB4_83 Depth=1
                                        ;     Parent Loop BB4_88 Depth=2
                                        ; =>    This Inner Loop Header: Depth=3
	s_sleep 1
	flat_load_dwordx2 v[38:39], v[28:29] glc
	v_and_b32_e32 v4, 64, v62
	v_cmp_eq_u32_e32 vcc, 0, v4
	s_andn2_b64 s[36:37], s[36:37], exec
	s_and_saveexec_b64 s[60:61], vcc
	s_cbranch_execz .LBB4_95
; %bb.97:                               ;   in Loop: Header=BB4_96 Depth=3
	v_add_u32_e32 v4, 1, v1
	v_cmp_lt_i32_e32 vcc, s72, v1
	s_mov_b64 s[64:65], -1
	s_and_saveexec_b64 s[62:63], vcc
	s_cbranch_execz .LBB4_94
; %bb.98:                               ;   in Loop: Header=BB4_96 Depth=3
	s_trap 2
	ds_read_b64 v[4:5], v0
	s_waitcnt vmcnt(0) lgkmcnt(0)
	flat_load_dword v1, v[4:5] glc
	s_waitcnt vmcnt(0) lgkmcnt(0)
	buffer_invl2
	buffer_wbinvl1_vol
	v_cmp_ne_u32_e32 vcc, 0, v1
	s_and_saveexec_b64 s[66:67], vcc
	s_cbranch_execz .LBB4_93
; %bb.99:                               ;   in Loop: Header=BB4_96 Depth=3
	v_or_b32_e32 v62, 64, v62
	s_xor_b64 s[64:65], exec, -1
	ds_write_b32 v0, v1
	s_trap 2
	s_branch .LBB4_93
.LBB4_100:                              ;   in Loop: Header=BB4_88 Depth=2
	s_or_b64 exec, exec, s[34:35]
	v_and_b32_e32 v1, 8, v62
.LBB4_101:                              ;   in Loop: Header=BB4_88 Depth=2
	s_or_b64 exec, exec, s[30:31]
	v_cmp_eq_u32_e32 vcc, 0, v1
	s_orn2_b64 s[30:31], vcc, exec
	;;#ASMSTART
	s_wakeup
	;;#ASMEND
.LBB4_102:                              ;   in Loop: Header=BB4_88 Depth=2
	s_or_b64 exec, exec, s[28:29]
	v_sub_u32_e32 v1, v7, v31
	s_xor_b64 s[28:29], s[30:31], -1
	v_min_i32_e32 v58, v58, v1
	s_and_saveexec_b64 s[30:31], s[28:29]
	s_cbranch_execz .LBB4_112
; %bb.103:                              ;   in Loop: Header=BB4_88 Depth=2
	v_and_b32_e32 v1, 0x100, v62
	v_cmp_ne_u32_e32 vcc, 0, v1
	v_and_b32_e32 v1, 7, v26
	s_mov_b64 s[28:29], -1
                                        ; implicit-def: $vgpr2_vgpr3
	s_and_saveexec_b64 s[34:35], vcc
	s_cbranch_execz .LBB4_107
; %bb.104:                              ;   in Loop: Header=BB4_88 Depth=2
	v_mad_u64_u32 v[4:5], s[28:29], v1, 24, v[12:13]
	flat_load_dword v2, v[4:5]
	v_ashrrev_i32_e32 v59, 31, v58
	flat_store_dwordx2 v[4:5], v[58:59] offset:8
	s_waitcnt vmcnt(0) lgkmcnt(0)
	v_cmp_ne_u32_e32 vcc, 1, v2
	v_cmp_eq_u32_e64 s[28:29], 1, v2
                                        ; implicit-def: $vgpr2_vgpr3
	s_and_saveexec_b64 s[36:37], s[28:29]
	s_cbranch_execz .LBB4_106
; %bb.105:                              ;   in Loop: Header=BB4_88 Depth=2
	flat_load_dword v2, v[4:5] offset:4 glc
	s_waitcnt vmcnt(0) lgkmcnt(0)
	v_ashrrev_i32_e32 v3, 31, v2
.LBB4_106:                              ;   in Loop: Header=BB4_88 Depth=2
	s_or_b64 exec, exec, s[36:37]
	s_orn2_b64 s[28:29], vcc, exec
.LBB4_107:                              ;   in Loop: Header=BB4_88 Depth=2
	s_or_b64 exec, exec, s[34:35]
	s_and_saveexec_b64 vcc, s[28:29]
; %bb.108:                              ;   in Loop: Header=BB4_88 Depth=2
	v_mad_i64_i32 v[2:3], s[28:29], v1, v30, 0
; %bb.109:                              ;   in Loop: Header=BB4_88 Depth=2
	s_or_b64 exec, exec, vcc
	v_add_co_u32_e32 v2, vcc, v32, v2
	v_addc_co_u32_e32 v3, vcc, v33, v3, vcc
	v_and_b32_e32 v1, 0x2000, v62
	v_cmp_ne_u32_e32 vcc, 0, v1
	ds_write_b64 v0, v[2:3] offset:792
	s_and_saveexec_b64 s[28:29], vcc
	s_cbranch_execz .LBB4_111
; %bb.110:                              ;   in Loop: Header=BB4_88 Depth=2
	ds_read_b64 v[2:3], v0 offset:584
	s_waitcnt lgkmcnt(0)
	v_add_co_u32_e32 v2, vcc, 1, v2
	v_addc_co_u32_e32 v3, vcc, 0, v3, vcc
	ds_write_b64 v0, v[2:3] offset:584
.LBB4_111:                              ;   in Loop: Header=BB4_88 Depth=2
	s_or_b64 exec, exec, s[28:29]
	v_add_co_u32_e32 v26, vcc, 2, v26
	v_addc_co_u32_e32 v27, vcc, 0, v27, vcc
.LBB4_112:                              ;   in Loop: Header=BB4_88 Depth=2
	s_or_b64 exec, exec, s[30:31]
	s_and_saveexec_b64 s[28:29], s[10:11]
	s_cbranch_execz .LBB4_131
; %bb.113:                              ;   in Loop: Header=BB4_88 Depth=2
	s_and_saveexec_b64 vcc, s[46:47]
	s_xor_b64 s[30:31], exec, vcc
	s_cbranch_execz .LBB4_128
; %bb.114:                              ;   in Loop: Header=BB4_88 Depth=2
	s_and_saveexec_b64 s[34:35], s[16:17]
	s_cbranch_execz .LBB4_127
; %bb.115:                              ;   in Loop: Header=BB4_88 Depth=2
	s_mov_b64 s[60:61], exec
	v_mbcnt_lo_u32_b32 v1, s60, 0
	v_mbcnt_hi_u32_b32 v1, s61, v1
	v_cmp_eq_u32_e32 vcc, 0, v1
	s_waitcnt vmcnt(0) lgkmcnt(0)
	buffer_wbinvl1_vol
	s_and_saveexec_b64 s[36:37], vcc
	s_cbranch_execz .LBB4_117
; %bb.116:                              ;   in Loop: Header=BB4_88 Depth=2
	s_bcnt1_i32_b64 vcc_lo, s[60:61]
	v_mov_b32_e32 v48, vcc_lo
	ds_add_u64 v0, v[48:49]
	s_trap 2
.LBB4_117:                              ;   in Loop: Header=BB4_88 Depth=2
	s_or_b64 exec, exec, s[36:37]
	s_trap 2
	ds_read_b64 v[2:3], v0
	v_add_co_u32_e32 v34, vcc, v34, v50
	v_addc_co_u32_e32 v35, vcc, 0, v35, vcc
	s_waitcnt lgkmcnt(0)
	v_cmp_lt_u64_e32 vcc, v[2:3], v[34:35]
	s_and_saveexec_b64 s[36:37], vcc
	s_cbranch_execz .LBB4_126
; %bb.118:                              ;   in Loop: Header=BB4_88 Depth=2
	s_mov_b32 s77, 0
	s_mov_b64 s[60:61], 0
                                        ; implicit-def: $sgpr62_sgpr63
                                        ; implicit-def: $sgpr64_sgpr65
	s_branch .LBB4_120
.LBB4_119:                              ;   in Loop: Header=BB4_120 Depth=3
	s_or_b64 exec, exec, s[68:69]
	s_and_b64 vcc, exec, vcc
	s_or_b64 s[60:61], vcc, s[60:61]
	s_andn2_b64 vcc, s[62:63], exec
	s_and_b64 s[62:63], s[64:65], exec
	s_or_b64 s[62:63], vcc, s[62:63]
	s_andn2_b64 exec, exec, s[60:61]
	s_cbranch_execz .LBB4_124
.LBB4_120:                              ;   Parent Loop BB4_83 Depth=1
                                        ;     Parent Loop BB4_88 Depth=2
                                        ; =>    This Inner Loop Header: Depth=3
	s_add_i32 s77, s77, 1
	s_cmpk_lg_i32 s77, 0x2710
	s_cselect_b64 s[66:67], -1, 0
	s_and_b64 vcc, exec, s[66:67]
                                        ; implicit-def: $sgpr68_sgpr69
	s_cbranch_vccnz .LBB4_122
; %bb.121:                              ;   in Loop: Header=BB4_120 Depth=3
	s_trap 2
	ds_read_b64 v[2:3], v0
	s_andn2_b64 s[66:67], s[66:67], exec
	s_mov_b32 s77, 0
	s_mov_b64 s[68:69], -1
	s_waitcnt lgkmcnt(0)
	flat_load_dword v1, v[2:3] glc
	s_waitcnt vmcnt(0) lgkmcnt(0)
	buffer_invl2
	buffer_wbinvl1_vol
	v_cmp_eq_u32_e32 vcc, 0, v1
	s_and_b64 vcc, vcc, exec
	s_or_b64 s[66:67], s[66:67], vcc
.LBB4_122:                              ;   in Loop: Header=BB4_120 Depth=3
	s_andn2_b64 s[64:65], s[64:65], exec
	s_and_b64 s[68:69], s[68:69], exec
	s_mov_b64 vcc, -1
	s_or_b64 s[64:65], s[64:65], s[68:69]
	s_and_saveexec_b64 s[68:69], s[66:67]
	s_cbranch_execz .LBB4_119
; %bb.123:                              ;   in Loop: Header=BB4_120 Depth=3
	s_sleep 1
	s_trap 2
	ds_read_b64 v[2:3], v0
	s_andn2_b64 s[64:65], s[64:65], exec
	s_waitcnt lgkmcnt(0)
	v_cmp_ge_u64_e32 vcc, v[2:3], v[34:35]
	s_orn2_b64 vcc, vcc, exec
	s_branch .LBB4_119
.LBB4_124:                              ;   in Loop: Header=BB4_88 Depth=2
	s_or_b64 exec, exec, s[60:61]
	s_and_saveexec_b64 vcc, s[62:63]
	s_xor_b64 vcc, exec, vcc
	s_cbranch_execz .LBB4_126
; %bb.125:                              ;   in Loop: Header=BB4_88 Depth=2
	ds_write_b32 v0, v46
	s_trap 2
.LBB4_126:                              ;   in Loop: Header=BB4_88 Depth=2
	s_or_b64 exec, exec, s[36:37]
	;;#ASMSTART
	s_wakeup
	;;#ASMEND
.LBB4_127:                              ;   in Loop: Header=BB4_88 Depth=2
	s_or_b64 exec, exec, s[34:35]
.LBB4_128:                              ;   in Loop: Header=BB4_88 Depth=2
	s_andn2_saveexec_b64 vcc, s[30:31]
	s_cbranch_execz .LBB4_130
; %bb.129:                              ;   in Loop: Header=BB4_88 Depth=2
	s_waitcnt vmcnt(0) lgkmcnt(0)
	buffer_wbinvl1_vol
	s_barrier
.LBB4_130:                              ;   in Loop: Header=BB4_88 Depth=2
	s_or_b64 exec, exec, vcc
.LBB4_131:                              ;   in Loop: Header=BB4_88 Depth=2
	s_or_b64 exec, exec, s[28:29]
	s_trap 2
	ds_read_b32 v2, v0
	v_and_b32_e32 v1, 0x4000, v62
	v_cmp_ne_u32_e32 vcc, 0, v1
	s_xor_b64 s[28:29], s[6:7], -1
	s_and_b64 vcc, s[28:29], vcc
	s_and_saveexec_b64 s[28:29], vcc
	s_cbranch_execz .LBB4_150
; %bb.132:                              ;   in Loop: Header=BB4_88 Depth=2
	s_and_saveexec_b64 vcc, s[46:47]
	s_xor_b64 s[30:31], exec, vcc
	s_cbranch_execz .LBB4_147
; %bb.133:                              ;   in Loop: Header=BB4_88 Depth=2
	s_and_saveexec_b64 s[34:35], s[16:17]
	s_cbranch_execz .LBB4_146
; %bb.134:                              ;   in Loop: Header=BB4_88 Depth=2
	s_mov_b64 s[60:61], exec
	v_mbcnt_lo_u32_b32 v1, s60, 0
	v_mbcnt_hi_u32_b32 v1, s61, v1
	v_cmp_eq_u32_e32 vcc, 0, v1
	s_waitcnt vmcnt(0) lgkmcnt(0)
	buffer_wbinvl1_vol
	s_and_saveexec_b64 s[36:37], vcc
	s_cbranch_execz .LBB4_136
; %bb.135:                              ;   in Loop: Header=BB4_88 Depth=2
	s_bcnt1_i32_b64 vcc_lo, s[60:61]
	v_mov_b32_e32 v48, vcc_lo
	ds_add_u64 v0, v[48:49]
	s_trap 2
.LBB4_136:                              ;   in Loop: Header=BB4_88 Depth=2
	s_or_b64 exec, exec, s[36:37]
	s_trap 2
	ds_read_b64 v[4:5], v0
	v_add_co_u32_e32 v34, vcc, v34, v50
	v_addc_co_u32_e32 v35, vcc, 0, v35, vcc
	s_waitcnt lgkmcnt(0)
	v_cmp_lt_u64_e32 vcc, v[4:5], v[34:35]
	s_and_saveexec_b64 s[36:37], vcc
	s_cbranch_execz .LBB4_145
; %bb.137:                              ;   in Loop: Header=BB4_88 Depth=2
	s_mov_b32 s77, 0
	s_mov_b64 s[60:61], 0
                                        ; implicit-def: $sgpr62_sgpr63
                                        ; implicit-def: $sgpr64_sgpr65
	s_branch .LBB4_139
.LBB4_138:                              ;   in Loop: Header=BB4_139 Depth=3
	s_or_b64 exec, exec, s[68:69]
	s_and_b64 vcc, exec, vcc
	s_or_b64 s[60:61], vcc, s[60:61]
	s_andn2_b64 vcc, s[62:63], exec
	s_and_b64 s[62:63], s[64:65], exec
	s_or_b64 s[62:63], vcc, s[62:63]
	s_andn2_b64 exec, exec, s[60:61]
	s_cbranch_execz .LBB4_143
.LBB4_139:                              ;   Parent Loop BB4_83 Depth=1
                                        ;     Parent Loop BB4_88 Depth=2
                                        ; =>    This Inner Loop Header: Depth=3
	s_add_i32 s77, s77, 1
	s_cmpk_lg_i32 s77, 0x2710
	s_cselect_b64 s[66:67], -1, 0
	s_and_b64 vcc, exec, s[66:67]
                                        ; implicit-def: $sgpr68_sgpr69
	s_cbranch_vccnz .LBB4_141
; %bb.140:                              ;   in Loop: Header=BB4_139 Depth=3
	s_trap 2
	ds_read_b64 v[4:5], v0
	s_andn2_b64 s[66:67], s[66:67], exec
	s_mov_b32 s77, 0
	s_mov_b64 s[68:69], -1
	s_waitcnt lgkmcnt(0)
	flat_load_dword v1, v[4:5] glc
	s_waitcnt vmcnt(0) lgkmcnt(0)
	buffer_invl2
	buffer_wbinvl1_vol
	v_cmp_eq_u32_e32 vcc, 0, v1
	s_and_b64 vcc, vcc, exec
	s_or_b64 s[66:67], s[66:67], vcc
.LBB4_141:                              ;   in Loop: Header=BB4_139 Depth=3
	s_andn2_b64 s[64:65], s[64:65], exec
	s_and_b64 s[68:69], s[68:69], exec
	s_mov_b64 vcc, -1
	s_or_b64 s[64:65], s[64:65], s[68:69]
	s_and_saveexec_b64 s[68:69], s[66:67]
	s_cbranch_execz .LBB4_138
; %bb.142:                              ;   in Loop: Header=BB4_139 Depth=3
	s_sleep 1
	s_trap 2
	ds_read_b64 v[4:5], v0
	s_andn2_b64 s[64:65], s[64:65], exec
	s_waitcnt lgkmcnt(0)
	v_cmp_ge_u64_e32 vcc, v[4:5], v[34:35]
	s_orn2_b64 vcc, vcc, exec
	s_branch .LBB4_138
.LBB4_143:                              ;   in Loop: Header=BB4_88 Depth=2
	s_or_b64 exec, exec, s[60:61]
	s_and_saveexec_b64 vcc, s[62:63]
	s_xor_b64 vcc, exec, vcc
	s_cbranch_execz .LBB4_145
; %bb.144:                              ;   in Loop: Header=BB4_88 Depth=2
	ds_write_b32 v0, v46
	s_trap 2
.LBB4_145:                              ;   in Loop: Header=BB4_88 Depth=2
	s_or_b64 exec, exec, s[36:37]
	;;#ASMSTART
	s_wakeup
	;;#ASMEND
.LBB4_146:                              ;   in Loop: Header=BB4_88 Depth=2
	s_or_b64 exec, exec, s[34:35]
.LBB4_147:                              ;   in Loop: Header=BB4_88 Depth=2
	s_andn2_saveexec_b64 vcc, s[30:31]
	s_cbranch_execz .LBB4_149
; %bb.148:                              ;   in Loop: Header=BB4_88 Depth=2
	s_waitcnt vmcnt(0) lgkmcnt(0)
	buffer_wbinvl1_vol
	s_barrier
.LBB4_149:                              ;   in Loop: Header=BB4_88 Depth=2
	s_or_b64 exec, exec, vcc
.LBB4_150:                              ;   in Loop: Header=BB4_88 Depth=2
	s_or_b64 exec, exec, s[28:29]
	s_trap 2
	ds_read_b64 v[4:5], v0
	v_mov_b32_e32 v59, 0
	s_waitcnt lgkmcnt(0)
	v_readfirstlane_b32 s28, v4
	v_readfirstlane_b32 s29, v5
	s_cmp_eq_u64 s[28:29], 0
	s_cselect_b64 s[28:29], -1, 0
	s_or_b64 s[28:29], s[28:29], s[28:29]
	s_and_b64 vcc, exec, s[28:29]
	s_cbranch_vccnz .LBB4_213
; %bb.151:                              ;   in Loop: Header=BB4_88 Depth=2
	s_trap 2
	ds_read_b64 v[4:5], v0
	v_cmp_eq_u32_e64 s[28:29], 0, v2
	v_cndmask_b32_e64 v59, 0, v58, s[28:29]
	s_mov_b64 s[28:29], -1
	s_waitcnt lgkmcnt(0)
	v_cmp_ne_u64_e32 vcc, 0, v[4:5]
	s_cbranch_vccz .LBB4_185
; %bb.152:                              ;   in Loop: Header=BB4_88 Depth=2
	s_and_saveexec_b64 s[30:31], s[18:19]
	s_cbranch_execz .LBB4_154
; %bb.153:                              ;   in Loop: Header=BB4_88 Depth=2
	ds_read_b32 v1, v0 offset:720
	s_waitcnt lgkmcnt(0)
	v_and_b32_e32 v1, 15, v1
	v_cmp_eq_u32_e32 vcc, 0, v1
	s_orn2_b64 s[28:29], vcc, exec
.LBB4_154:                              ;   in Loop: Header=BB4_88 Depth=2
	s_or_b64 exec, exec, s[30:31]
	s_and_saveexec_b64 s[30:31], s[20:21]
	s_cbranch_execz .LBB4_156
; %bb.155:                              ;   in Loop: Header=BB4_88 Depth=2
	ds_read_b32 v1, v0 offset:784
	s_waitcnt lgkmcnt(0)
	v_and_b32_e32 v1, 15, v1
	v_cmp_eq_u32_e32 vcc, 0, v1
	s_and_b64 vcc, s[28:29], vcc
	s_andn2_b64 s[28:29], s[28:29], exec
	s_and_b64 vcc, vcc, exec
	s_or_b64 s[28:29], s[28:29], vcc
.LBB4_156:                              ;   in Loop: Header=BB4_88 Depth=2
	s_or_b64 exec, exec, s[30:31]
	s_xor_b64 s[28:29], s[28:29], -1
	v_cndmask_b32_e64 v1, 0, 1, s[28:29]
	s_mov_b64 s[30:31], -1
	;;#ASMSTART
	;;#ASMEND
	v_cmp_ne_u32_e32 vcc, 0, v1
	v_mov_b32_e32 v16, 0
	v_mov_b32_e32 v17, v59
	;; [unrolled: 1-line block ×3, first 2 shown]
	s_cbranch_vccz .LBB4_158
; %bb.157:                              ;   in Loop: Header=BB4_88 Depth=2
	s_and_saveexec_b64 s[34:35], s[30:31]
	s_cbranch_execnz .LBB4_173
	s_branch .LBB4_184
.LBB4_158:                              ;   in Loop: Header=BB4_88 Depth=2
	v_ashrrev_i32_e32 v2, 31, v59
	v_lshrrev_b32_e32 v2, 22, v2
	v_add_u32_e32 v2, v59, v2
	v_and_b32_e32 v9, 0xfffffc00, v2
	v_sub_u32_e32 v19, v59, v9
	v_ashrrev_i32_e32 v3, 10, v2
	v_cmp_lt_i32_e64 s[28:29], 15, v19
	v_accvgpr_read_b32 v2, a24
	v_sub_u32_e32 v1, v59, v52
	v_addc_co_u32_e64 v18, vcc, v3, v2, s[28:29]
	v_cmp_lt_i32_e32 vcc, 15, v1
	s_and_saveexec_b64 s[60:61], vcc
	s_cbranch_execz .LBB4_164
; %bb.159:                              ;   in Loop: Header=BB4_88 Depth=2
	s_trap 2
	ds_read_b64 v[14:15], v0
	ds_read_b128 v[2:5], v0
	s_mov_b64 s[62:63], 0
	s_waitcnt lgkmcnt(0)
	v_add_co_u32_e32 v22, vcc, v14, v52
	v_addc_co_u32_e32 v23, vcc, v15, v53, vcc
	s_waitcnt lgkmcnt(0)
	v_add_co_u32_e32 v2, vcc, v2, v52
	v_addc_co_u32_e32 v3, vcc, v3, v53, vcc
	v_add_co_u32_e32 v4, vcc, v4, v52
	v_addc_co_u32_e32 v5, vcc, v5, v53, vcc
.LBB4_160:                              ;   Parent Loop BB4_83 Depth=1
                                        ;     Parent Loop BB4_88 Depth=2
                                        ; =>    This Loop Header: Depth=3
                                        ;         Child Loop BB4_161 Depth 4
	global_load_dwordx4 v[14:17], v[22:23], off glc slc
	s_mov_b64 s[66:67], -1
	s_mov_b64 s[64:65], 0
	s_waitcnt vmcnt(0)
.LBB4_161:                              ;   Parent Loop BB4_83 Depth=1
                                        ;     Parent Loop BB4_88 Depth=2
                                        ;       Parent Loop BB4_160 Depth=3
                                        ; =>      This Inner Loop Header: Depth=4
	s_cmp_eq_u32 s64, 0
	s_cselect_b64 s[30:31], -1, 0
	s_cmp_eq_u32 s64, 1
	s_cselect_b64 s[36:37], -1, 0
	v_cndmask_b32_e64 v10, 0, 1, s[66:67]
	v_cndmask_b32_e64 v54, v2, v4, s[36:37]
	v_cmp_ne_u32_e64 s[34:35], 1, v10
	v_cndmask_b32_e64 v55, v3, v5, s[36:37]
	v_add_co_u32_e32 v10, vcc, 0x400, v54
	v_addc_co_u32_e32 v48, vcc, 0, v55, vcc
	s_mov_b64 s[66:67], 0
	s_mov_b64 s[64:65], 1
	v_cndmask_b32_e64 v4, v4, v10, s[36:37]
	s_and_b64 vcc, exec, s[34:35]
	v_cndmask_b32_e64 v5, v5, v48, s[36:37]
	v_cndmask_b32_e64 v3, v3, v48, s[30:31]
	;; [unrolled: 1-line block ×3, first 2 shown]
	global_store_dwordx4 v[54:55], v[14:17], off glc slc
	s_cbranch_vccz .LBB4_161
; %bb.162:                              ;   in Loop: Header=BB4_160 Depth=3
	v_add_co_u32_e32 v2, vcc, v2, v44
	v_addc_co_u32_e32 v3, vcc, v3, v43, vcc
	v_add_co_u32_e32 v4, vcc, v4, v44
	v_addc_co_u32_e32 v5, vcc, v5, v43, vcc
	;; [unrolled: 2-line block ×3, first 2 shown]
	v_sub_u32_e32 v1, v1, v47
	v_cmp_gt_i32_e32 vcc, 16, v1
	s_or_b64 s[62:63], vcc, s[62:63]
	v_sub_u32_e32 v18, v18, v50
	s_andn2_b64 exec, exec, s[62:63]
	s_cbranch_execnz .LBB4_160
; %bb.163:                              ;   in Loop: Header=BB4_88 Depth=2
	s_or_b64 exec, exec, s[62:63]
.LBB4_164:                              ;   in Loop: Header=BB4_88 Depth=2
	s_or_b64 exec, exec, s[60:61]
	v_and_b32_e32 v2, 15, v59
	v_cndmask_b32_e64 v1, v19, v2, s[28:29]
	v_cmp_ne_u32_e32 vcc, 0, v1
	s_mov_b64 s[30:31], 0
	v_mov_b32_e32 v16, 0
                                        ; implicit-def: $vgpr17
                                        ; implicit-def: $vgpr22
	s_and_saveexec_b64 s[60:61], vcc
	s_cbranch_execz .LBB4_172
; %bb.165:                              ;   in Loop: Header=BB4_88 Depth=2
	v_sub_u32_e32 v2, v19, v2
	v_cndmask_b32_e64 v2, 0, v2, s[28:29]
	v_cmp_lt_i32_e32 vcc, 0, v18
	v_add_u32_e32 v48, v2, v9
	v_cndmask_b32_e32 v2, 0, v50, vcc
	v_sub_u32_e32 v2, v2, v18
	v_accvgpr_read_b32 v3, a23
	v_lshl_add_u32 v2, v2, 6, v3
	v_ashrrev_i32_e32 v3, 31, v2
	v_lshrrev_b32_e32 v3, 26, v3
	v_add_u32_e32 v3, v2, v3
	v_ashrrev_i32_e32 v4, 6, v3
	v_and_b32_e32 v3, 0xffffffc0, v3
	v_sub_u32_e32 v9, v2, v3
	v_ashrrev_i32_e32 v3, 31, v1
	v_lshrrev_b32_e32 v3, 22, v3
	v_add_u32_e32 v3, v1, v3
	v_and_b32_e32 v18, 0xfffffc00, v3
	v_lshlrev_b32_e32 v2, 4, v9
	v_sub_u32_e32 v19, v1, v18
	v_lshl_add_u32 v2, v4, 10, v2
	v_ashrrev_i32_e32 v5, 10, v3
	v_cmp_lt_i32_e64 s[28:29], 15, v19
	v_sub_u32_e32 v55, v1, v2
	v_addc_co_u32_e64 v3, vcc, 0, v5, s[28:29]
	v_sub_u32_e32 v54, v3, v4
	v_cmp_lt_i32_e32 vcc, 15, v55
	s_and_saveexec_b64 s[62:63], vcc
	s_cbranch_execz .LBB4_171
; %bb.166:                              ;   in Loop: Header=BB4_88 Depth=2
	s_trap 2
	ds_read_b64 v[14:15], v0
	v_add_u32_e32 v10, v2, v48
	ds_read_b128 v[2:5], v0
	v_ashrrev_i32_e32 v16, 31, v10
	s_mov_b64 s[64:65], 0
	s_waitcnt lgkmcnt(0)
	v_add_co_u32_e32 v22, vcc, v14, v10
	v_addc_co_u32_e32 v23, vcc, v15, v16, vcc
	s_waitcnt lgkmcnt(0)
	v_add_co_u32_e32 v2, vcc, v2, v10
	v_addc_co_u32_e32 v3, vcc, v3, v16, vcc
	v_add_co_u32_e32 v4, vcc, v4, v10
	v_addc_co_u32_e32 v5, vcc, v5, v16, vcc
.LBB4_167:                              ;   Parent Loop BB4_83 Depth=1
                                        ;     Parent Loop BB4_88 Depth=2
                                        ; =>    This Loop Header: Depth=3
                                        ;         Child Loop BB4_168 Depth 4
	global_load_dwordx4 v[14:17], v[22:23], off glc slc
	s_mov_b64 s[68:69], -1
	s_mov_b64 s[66:67], 0
	s_waitcnt vmcnt(0)
.LBB4_168:                              ;   Parent Loop BB4_83 Depth=1
                                        ;     Parent Loop BB4_88 Depth=2
                                        ;       Parent Loop BB4_167 Depth=3
                                        ; =>      This Inner Loop Header: Depth=4
	s_cmp_eq_u32 s66, 0
	s_cselect_b64 s[30:31], -1, 0
	s_cmp_eq_u32 s66, 1
	s_cselect_b64 s[36:37], -1, 0
	v_cndmask_b32_e64 v10, 0, 1, s[68:69]
	v_cndmask_b32_e64 v56, v2, v4, s[36:37]
	v_cmp_ne_u32_e64 s[34:35], 1, v10
	v_cndmask_b32_e64 v57, v3, v5, s[36:37]
	v_add_co_u32_e32 v10, vcc, 0x400, v56
	v_addc_co_u32_e32 v51, vcc, 0, v57, vcc
	s_mov_b64 s[68:69], 0
	s_mov_b64 s[66:67], 1
	v_cndmask_b32_e64 v4, v4, v10, s[36:37]
	s_and_b64 vcc, exec, s[34:35]
	v_cndmask_b32_e64 v5, v5, v51, s[36:37]
	v_cndmask_b32_e64 v3, v3, v51, s[30:31]
	;; [unrolled: 1-line block ×3, first 2 shown]
	global_store_dwordx4 v[56:57], v[14:17], off glc slc
	s_cbranch_vccz .LBB4_168
; %bb.169:                              ;   in Loop: Header=BB4_167 Depth=3
	v_add_co_u32_e32 v2, vcc, v2, v44
	v_addc_co_u32_e32 v3, vcc, v3, v43, vcc
	v_add_co_u32_e32 v4, vcc, v4, v44
	v_addc_co_u32_e32 v5, vcc, v5, v43, vcc
	;; [unrolled: 2-line block ×3, first 2 shown]
	v_sub_u32_e32 v55, v55, v47
	v_cmp_gt_i32_e32 vcc, 16, v55
	s_or_b64 s[64:65], vcc, s[64:65]
	v_sub_u32_e32 v54, v54, v50
	s_andn2_b64 exec, exec, s[64:65]
	s_cbranch_execnz .LBB4_167
; %bb.170:                              ;   in Loop: Header=BB4_88 Depth=2
	s_or_b64 exec, exec, s[64:65]
.LBB4_171:                              ;   in Loop: Header=BB4_88 Depth=2
	s_or_b64 exec, exec, s[62:63]
	v_and_b32_e32 v1, 15, v1
	v_cmp_lt_i32_e32 vcc, 0, v54
	v_sub_u32_e32 v2, v19, v1
	v_cndmask_b32_e64 v17, v19, v1, s[28:29]
	v_cndmask_b32_e32 v1, 0, v50, vcc
	v_cndmask_b32_e64 v2, 0, v2, s[28:29]
	v_sub_u32_e32 v1, v1, v54
	v_cmp_ne_u32_e32 vcc, 0, v17
	v_add3_u32 v16, v18, v48, v2
	v_lshl_add_u32 v22, v1, 6, v9
	s_and_b64 s[30:31], vcc, exec
.LBB4_172:                              ;   in Loop: Header=BB4_88 Depth=2
	s_or_b64 exec, exec, s[60:61]
	s_and_saveexec_b64 s[34:35], s[30:31]
	s_cbranch_execz .LBB4_184
.LBB4_173:                              ;   in Loop: Header=BB4_88 Depth=2
	v_ashrrev_i32_e32 v1, 31, v22
	v_lshrrev_b32_e32 v1, 26, v1
	v_add_u32_e32 v2, v22, v1
	v_ashrrev_i32_e32 v1, 31, v17
	v_lshrrev_b32_e32 v1, 23, v1
	v_add_u32_e32 v1, v17, v1
	v_ashrrev_i32_e32 v23, 6, v2
	v_ashrrev_i32_e32 v1, 9, v1
	v_sub_u32_e32 v48, v1, v23
	v_cmp_lt_i32_e32 vcc, 0, v48
	s_and_saveexec_b64 s[28:29], vcc
	s_cbranch_execz .LBB4_177
; %bb.174:                              ;   in Loop: Header=BB4_88 Depth=2
	v_and_b32_e32 v2, 0xffffffc0, v2
	s_trap 2
	v_sub_u32_e32 v9, v22, v2
	ds_read_b64 v[14:15], v0
	ds_read_b128 v[2:5], v0
	v_lshlrev_b32_e32 v10, 9, v23
	v_add3_u32 v9, v16, v9, v10
	v_ashrrev_i32_e32 v10, 31, v9
	s_mov_b64 s[30:31], 0
	s_waitcnt lgkmcnt(0)
	v_add_co_u32_e32 v2, vcc, v2, v9
	v_addc_co_u32_e32 v3, vcc, v3, v10, vcc
	v_add_co_u32_e32 v4, vcc, v4, v9
	v_addc_co_u32_e32 v5, vcc, v5, v10, vcc
	;; [unrolled: 2-line block ×4, first 2 shown]
.LBB4_175:                              ;   Parent Loop BB4_83 Depth=1
                                        ;     Parent Loop BB4_88 Depth=2
                                        ; =>    This Inner Loop Header: Depth=3
	v_add_co_u32_e32 v18, vcc, 0xfffffe40, v14
	v_addc_co_u32_e32 v19, vcc, -1, v15, vcc
	v_add_co_u32_e32 v54, vcc, 0xfffffe80, v14
	v_addc_co_u32_e32 v55, vcc, -1, v15, vcc
	flat_load_ubyte v10, v[18:19] glc slc
	v_add_co_u32_e32 v18, vcc, 0xfffffec0, v14
	v_addc_co_u32_e32 v19, vcc, -1, v15, vcc
	flat_load_ubyte v51, v[54:55] glc slc
	v_add_co_u32_e32 v54, vcc, 0xffffff00, v14
	flat_load_ubyte v9, v[14:15] glc slc
	v_addc_co_u32_e32 v55, vcc, -1, v15, vcc
	flat_load_ubyte v45, v[18:19] glc slc
	v_add_co_u32_e32 v18, vcc, 0xffffff40, v14
	v_addc_co_u32_e32 v19, vcc, -1, v15, vcc
	flat_load_ubyte v56, v[54:55] glc slc
	v_add_co_u32_e32 v54, vcc, 0xffffff80, v14
	;; [unrolled: 3-line block ×3, first 2 shown]
	flat_load_ubyte v54, v[54:55] glc slc
	v_addc_co_u32_e32 v19, vcc, -1, v15, vcc
	flat_load_ubyte v18, v[18:19] glc slc
	v_sub_u32_e32 v48, v48, v50
	v_cmp_gt_i32_e32 vcc, 1, v48
	s_or_b64 s[30:31], vcc, s[30:31]
	v_add_co_u32_e32 v14, vcc, v14, v40
	v_addc_co_u32_e32 v15, vcc, v15, v20, vcc
	s_waitcnt vmcnt(0) lgkmcnt(0)
	flat_store_byte v[2:3], v9 offset:448 glc slc
	flat_store_byte v[2:3], v10 glc slc
	flat_store_byte v[2:3], v51 offset:64 glc slc
	flat_store_byte v[2:3], v45 offset:128 glc slc
	;; [unrolled: 1-line block ×6, first 2 shown]
	flat_store_byte v[4:5], v10 glc slc
	flat_store_byte v[4:5], v51 offset:64 glc slc
	flat_store_byte v[4:5], v45 offset:128 glc slc
	;; [unrolled: 1-line block ×7, first 2 shown]
	v_add_co_u32_e32 v2, vcc, v2, v40
	v_addc_co_u32_e32 v3, vcc, v3, v20, vcc
	v_add_co_u32_e32 v4, vcc, v4, v40
	v_addc_co_u32_e32 v5, vcc, v5, v20, vcc
	s_andn2_b64 exec, exec, s[30:31]
	s_cbranch_execnz .LBB4_175
; %bb.176:                              ;   in Loop: Header=BB4_88 Depth=2
	s_or_b64 exec, exec, s[30:31]
.LBB4_177:                              ;   in Loop: Header=BB4_88 Depth=2
	s_or_b64 exec, exec, s[28:29]
	v_lshlrev_b32_e32 v1, 9, v1
	v_cmp_ne_u32_e32 vcc, v17, v1
	s_and_saveexec_b64 s[36:37], vcc
	s_cbranch_execz .LBB4_183
; %bb.178:                              ;   in Loop: Header=BB4_88 Depth=2
	v_lshlrev_b32_e32 v2, 6, v23
	v_sub_u32_e32 v2, v22, v2
	v_lshlrev_b32_e32 v3, 6, v48
	v_sub_u32_e32 v2, v2, v3
	v_add_u32_e32 v2, v1, v2
	v_sub_u32_e32 v1, v17, v2
	v_cmp_lt_i32_e32 vcc, 0, v1
	s_and_b64 exec, exec, vcc
	s_cbranch_execz .LBB4_183
; %bb.179:                              ;   in Loop: Header=BB4_88 Depth=2
	s_trap 2
	ds_read_b64 v[14:15], v0
	v_add_u32_e32 v9, v2, v16
	ds_read_b128 v[2:5], v0
	v_ashrrev_i32_e32 v10, 31, v9
	s_mov_b64 s[60:61], 0
	s_waitcnt lgkmcnt(0)
	v_add_co_u32_e32 v14, vcc, v14, v9
	v_addc_co_u32_e32 v15, vcc, v15, v10, vcc
	v_add_co_u32_e32 v2, vcc, v2, v9
	v_addc_co_u32_e32 v3, vcc, v3, v10, vcc
	;; [unrolled: 2-line block ×3, first 2 shown]
.LBB4_180:                              ;   Parent Loop BB4_83 Depth=1
                                        ;     Parent Loop BB4_88 Depth=2
                                        ; =>    This Loop Header: Depth=3
                                        ;         Child Loop BB4_181 Depth 4
	flat_load_ubyte v9, v[14:15] glc slc
	s_mov_b64 s[62:63], -1
	s_mov_b64 s[64:65], 0
	s_waitcnt vmcnt(0)
.LBB4_181:                              ;   Parent Loop BB4_83 Depth=1
                                        ;     Parent Loop BB4_88 Depth=2
                                        ;       Parent Loop BB4_180 Depth=3
                                        ; =>      This Inner Loop Header: Depth=4
	s_cmp_eq_u32 s64, 1
	s_cselect_b64 vcc, -1, 0
	v_cndmask_b32_e32 v16, v2, v4, vcc
	v_cndmask_b32_e32 v17, v3, v5, vcc
	v_add_co_u32_e64 v10, s[28:29], 64, v16
	s_cmp_eq_u32 s64, 0
	s_waitcnt lgkmcnt(0)
	flat_store_byte v[16:17], v9 glc slc
	v_addc_co_u32_e64 v16, s[28:29], 0, v17, s[28:29]
	s_cselect_b64 s[28:29], -1, 0
	s_and_b64 s[30:31], exec, s[62:63]
	s_mov_b64 s[64:65], 1
	s_mov_b64 s[62:63], 0
	v_cndmask_b32_e32 v5, v5, v16, vcc
	v_cndmask_b32_e32 v4, v4, v10, vcc
	v_cndmask_b32_e64 v3, v3, v16, s[28:29]
	v_cndmask_b32_e64 v2, v2, v10, s[28:29]
	s_mov_b64 vcc, s[30:31]
	s_cbranch_vccnz .LBB4_181
; %bb.182:                              ;   in Loop: Header=BB4_180 Depth=3
	v_add_co_u32_e32 v2, vcc, v2, v42
	v_addc_co_u32_e32 v3, vcc, v3, v41, vcc
	v_add_co_u32_e32 v4, vcc, v4, v42
	v_addc_co_u32_e32 v5, vcc, v5, v41, vcc
	v_sub_u32_e32 v1, v1, v25
	v_cmp_gt_i32_e32 vcc, 1, v1
	s_or_b64 s[60:61], vcc, s[60:61]
	v_add_co_u32_e32 v14, vcc, v21, v14
	v_addc_co_u32_e32 v15, vcc, v8, v15, vcc
	s_andn2_b64 exec, exec, s[60:61]
	s_cbranch_execnz .LBB4_180
.LBB4_183:                              ;   in Loop: Header=BB4_88 Depth=2
	s_or_b64 exec, exec, s[36:37]
.LBB4_184:                              ;   in Loop: Header=BB4_88 Depth=2
	s_or_b64 exec, exec, s[34:35]
	s_mov_b64 s[28:29], 0
.LBB4_185:                              ;   in Loop: Header=BB4_88 Depth=2
	s_and_b64 vcc, exec, s[28:29]
	s_cbranch_vccz .LBB4_213
; %bb.186:                              ;   in Loop: Header=BB4_88 Depth=2
	s_mov_b64 s[28:29], -1
	s_and_saveexec_b64 s[30:31], s[18:19]
	s_cbranch_execz .LBB4_188
; %bb.187:                              ;   in Loop: Header=BB4_88 Depth=2
	ds_read_b32 v1, v0 offset:720
	s_waitcnt lgkmcnt(0)
	v_and_b32_e32 v1, 15, v1
	v_cmp_eq_u32_e32 vcc, 0, v1
	s_orn2_b64 s[28:29], vcc, exec
.LBB4_188:                              ;   in Loop: Header=BB4_88 Depth=2
	s_or_b64 exec, exec, s[30:31]
	s_and_saveexec_b64 s[30:31], s[18:19]
	s_cbranch_execz .LBB4_190
; %bb.189:                              ;   in Loop: Header=BB4_88 Depth=2
	ds_read_b32 v1, v0 offset:784
	s_waitcnt lgkmcnt(0)
	v_and_b32_e32 v1, 15, v1
	v_cmp_eq_u32_e32 vcc, 0, v1
	s_and_b64 vcc, s[28:29], vcc
	s_andn2_b64 s[28:29], s[28:29], exec
	s_and_b64 vcc, vcc, exec
	s_or_b64 s[28:29], s[28:29], vcc
.LBB4_190:                              ;   in Loop: Header=BB4_88 Depth=2
	s_or_b64 exec, exec, s[30:31]
	s_xor_b64 s[28:29], s[28:29], -1
	v_cndmask_b32_e64 v1, 0, 1, s[28:29]
	;;#ASMSTART
	;;#ASMEND
	s_mov_b64 s[34:35], -1
	v_cmp_ne_u32_e32 vcc, 0, v1
	v_mov_b32_e32 v1, 0
	v_mov_b32_e32 v9, v59
	v_mov_b32_e32 v16, v0
	s_cbranch_vccz .LBB4_192
; %bb.191:                              ;   in Loop: Header=BB4_88 Depth=2
	s_and_saveexec_b64 s[28:29], s[34:35]
	s_cbranch_execnz .LBB4_203
	s_branch .LBB4_212
.LBB4_192:                              ;   in Loop: Header=BB4_88 Depth=2
	v_ashrrev_i32_e32 v2, 31, v59
	v_lshrrev_b32_e32 v2, 22, v2
	v_add_u32_e32 v2, v59, v2
	v_and_b32_e32 v15, 0xfffffc00, v2
	v_sub_u32_e32 v18, v59, v15
	v_ashrrev_i32_e32 v3, 10, v2
	v_cmp_lt_i32_e32 vcc, 15, v18
	v_accvgpr_read_b32 v2, a24
	v_sub_u32_e32 v1, v59, v52
	v_addc_co_u32_e64 v17, s[28:29], v3, v2, vcc
	v_cmp_lt_i32_e64 s[28:29], 15, v1
	s_and_saveexec_b64 s[30:31], s[28:29]
	s_cbranch_execz .LBB4_196
; %bb.193:                              ;   in Loop: Header=BB4_88 Depth=2
	s_trap 2
	ds_read_b64 v[2:3], v0
	s_mov_b64 s[34:35], 0
	v_pk_mov_b32 v[4:5], v[52:53], v[52:53] op_sel:[0,1]
.LBB4_194:                              ;   Parent Loop BB4_83 Depth=1
                                        ;     Parent Loop BB4_88 Depth=2
                                        ; =>    This Inner Loop Header: Depth=3
	s_waitcnt lgkmcnt(0)
	v_add_co_u32_e64 v22, s[28:29], v2, v4
	v_addc_co_u32_e64 v23, s[28:29], v3, v5, s[28:29]
	global_load_dwordx4 v[54:57], v[22:23], off glc slc
	v_add_co_u32_e64 v4, s[28:29], v4, v11
	v_sub_u32_e32 v1, v1, v47
	v_addc_co_u32_e64 v5, s[28:29], v5, v6, s[28:29]
	v_cmp_gt_i32_e64 s[28:29], 16, v1
	v_sub_u32_e32 v17, v17, v50
	s_or_b64 s[34:35], s[28:29], s[34:35]
	s_waitcnt vmcnt(0)
	global_store_dwordx4 v[22:23], v[54:57], off glc slc
	s_andn2_b64 exec, exec, s[34:35]
	s_cbranch_execnz .LBB4_194
; %bb.195:                              ;   in Loop: Header=BB4_88 Depth=2
	s_or_b64 exec, exec, s[34:35]
.LBB4_196:                              ;   in Loop: Header=BB4_88 Depth=2
	s_or_b64 exec, exec, s[30:31]
	v_and_b32_e32 v2, 15, v59
	v_cndmask_b32_e32 v14, v18, v2, vcc
	v_cmp_ne_u32_e64 s[28:29], 0, v14
	s_mov_b64 s[34:35], 0
	v_mov_b32_e32 v1, 0
                                        ; implicit-def: $vgpr9
                                        ; implicit-def: $vgpr16
	s_and_saveexec_b64 s[30:31], s[28:29]
	s_cbranch_execz .LBB4_202
; %bb.197:                              ;   in Loop: Header=BB4_88 Depth=2
	v_sub_u32_e32 v1, v18, v2
	v_cndmask_b32_e32 v1, 0, v1, vcc
	v_cmp_lt_i32_e32 vcc, 0, v17
	v_cndmask_b32_e32 v2, 0, v50, vcc
	v_sub_u32_e32 v2, v2, v17
	v_accvgpr_read_b32 v3, a23
	v_lshl_add_u32 v2, v2, 6, v3
	v_ashrrev_i32_e32 v3, 31, v2
	v_lshrrev_b32_e32 v3, 26, v3
	v_add_u32_e32 v3, v2, v3
	v_ashrrev_i32_e32 v5, 6, v3
	v_and_b32_e32 v3, 0xffffffc0, v3
	v_add_u32_e32 v1, v1, v15
	v_sub_u32_e32 v15, v2, v3
	v_lshlrev_b32_e32 v2, 4, v15
	v_lshl_add_u32 v4, v5, 10, v2
	v_ashrrev_i32_e32 v2, 31, v14
	v_lshrrev_b32_e32 v2, 22, v2
	v_add_u32_e32 v2, v14, v2
	v_and_b32_e32 v9, 0xfffffc00, v2
	v_sub_u32_e32 v16, v14, v9
	v_ashrrev_i32_e32 v3, 10, v2
	v_cmp_lt_i32_e32 vcc, 15, v16
	v_sub_u32_e32 v18, v14, v4
	v_addc_co_u32_e64 v2, s[28:29], 0, v3, vcc
	v_sub_u32_e32 v17, v2, v5
	v_cmp_lt_i32_e64 s[28:29], 15, v18
	s_and_saveexec_b64 s[34:35], s[28:29]
	s_cbranch_execz .LBB4_201
; %bb.198:                              ;   in Loop: Header=BB4_88 Depth=2
	s_trap 2
	ds_read_b64 v[2:3], v0
	v_add_u32_e32 v4, v4, v1
	v_ashrrev_i32_e32 v5, 31, v4
	s_mov_b64 s[36:37], 0
.LBB4_199:                              ;   Parent Loop BB4_83 Depth=1
                                        ;     Parent Loop BB4_88 Depth=2
                                        ; =>    This Inner Loop Header: Depth=3
	s_waitcnt lgkmcnt(0)
	v_add_co_u32_e64 v22, s[28:29], v2, v4
	v_addc_co_u32_e64 v23, s[28:29], v3, v5, s[28:29]
	global_load_dwordx4 v[54:57], v[22:23], off glc slc
	v_add_co_u32_e64 v4, s[28:29], v4, v11
	v_sub_u32_e32 v18, v18, v47
	v_addc_co_u32_e64 v5, s[28:29], v5, v6, s[28:29]
	v_cmp_gt_i32_e64 s[28:29], 16, v18
	v_sub_u32_e32 v17, v17, v50
	s_or_b64 s[36:37], s[28:29], s[36:37]
	s_waitcnt vmcnt(0)
	global_store_dwordx4 v[22:23], v[54:57], off glc slc
	s_andn2_b64 exec, exec, s[36:37]
	s_cbranch_execnz .LBB4_199
; %bb.200:                              ;   in Loop: Header=BB4_88 Depth=2
	s_or_b64 exec, exec, s[36:37]
.LBB4_201:                              ;   in Loop: Header=BB4_88 Depth=2
	s_or_b64 exec, exec, s[34:35]
	v_and_b32_e32 v2, 15, v14
	v_sub_u32_e32 v3, v16, v2
	v_cndmask_b32_e32 v3, 0, v3, vcc
	v_add3_u32 v1, v9, v1, v3
	v_cndmask_b32_e32 v9, v16, v2, vcc
	v_cmp_lt_i32_e32 vcc, 0, v17
	v_cndmask_b32_e32 v2, 0, v50, vcc
	v_sub_u32_e32 v2, v2, v17
	v_cmp_ne_u32_e32 vcc, 0, v9
	v_lshl_add_u32 v16, v2, 6, v15
	s_and_b64 s[34:35], vcc, exec
.LBB4_202:                              ;   in Loop: Header=BB4_88 Depth=2
	s_or_b64 exec, exec, s[30:31]
	s_and_saveexec_b64 s[28:29], s[34:35]
	s_cbranch_execz .LBB4_212
.LBB4_203:                              ;   in Loop: Header=BB4_88 Depth=2
	v_ashrrev_i32_e32 v2, 31, v16
	v_lshrrev_b32_e32 v2, 26, v2
	v_add_u32_e32 v4, v16, v2
	v_ashrrev_i32_e32 v2, 31, v9
	v_lshrrev_b32_e32 v2, 23, v2
	v_add_u32_e32 v2, v9, v2
	v_ashrrev_i32_e32 v17, 6, v4
	v_ashrrev_i32_e32 v19, 9, v2
	v_sub_u32_e32 v18, v19, v17
	v_cmp_lt_i32_e32 vcc, 0, v18
	s_and_saveexec_b64 s[30:31], vcc
	s_cbranch_execz .LBB4_207
; %bb.204:                              ;   in Loop: Header=BB4_88 Depth=2
	s_trap 2
	ds_read_b64 v[2:3], v0
	v_and_b32_e32 v4, 0xffffffc0, v4
	v_sub_u32_e32 v4, v16, v4
	v_lshlrev_b32_e32 v5, 9, v17
	v_add3_u32 v4, v1, v4, v5
	v_ashrrev_i32_e32 v5, 31, v4
	s_mov_b64 s[34:35], 0
	s_waitcnt lgkmcnt(0)
	v_pk_mov_b32 v[14:15], v[2:3], v[2:3] op_sel:[0,1]
.LBB4_205:                              ;   Parent Loop BB4_83 Depth=1
                                        ;     Parent Loop BB4_88 Depth=2
                                        ; =>    This Inner Loop Header: Depth=3
	v_add_co_u32_e32 v22, vcc, v4, v14
	v_addc_co_u32_e32 v23, vcc, v5, v15, vcc
	flat_load_ubyte v48, v[22:23] glc slc
	flat_load_ubyte v54, v[22:23] offset:64 glc slc
	flat_load_ubyte v55, v[22:23] offset:128 glc slc
	;; [unrolled: 1-line block ×7, first 2 shown]
	v_add_co_u32_e32 v22, vcc, v4, v2
	v_addc_co_u32_e32 v23, vcc, v5, v3, vcc
	v_add_co_u32_e32 v14, vcc, v14, v40
	v_addc_co_u32_e32 v15, vcc, v15, v20, vcc
	v_add_co_u32_e32 v2, vcc, v2, v40
	v_sub_u32_e32 v18, v18, v50
	v_addc_co_u32_e32 v3, vcc, v3, v20, vcc
	v_cmp_gt_i32_e32 vcc, 1, v18
	s_or_b64 s[34:35], vcc, s[34:35]
	s_waitcnt vmcnt(0) lgkmcnt(0)
	flat_store_byte v[22:23], v48 glc slc
	flat_store_byte v[22:23], v54 offset:64 glc slc
	flat_store_byte v[22:23], v55 offset:128 glc slc
	;; [unrolled: 1-line block ×7, first 2 shown]
	s_andn2_b64 exec, exec, s[34:35]
	s_cbranch_execnz .LBB4_205
; %bb.206:                              ;   in Loop: Header=BB4_88 Depth=2
	s_or_b64 exec, exec, s[34:35]
.LBB4_207:                              ;   in Loop: Header=BB4_88 Depth=2
	s_or_b64 exec, exec, s[30:31]
	v_lshlrev_b32_e32 v2, 9, v19
	v_cmp_ne_u32_e32 vcc, v9, v2
	s_and_saveexec_b64 s[30:31], vcc
	s_cbranch_execz .LBB4_211
; %bb.208:                              ;   in Loop: Header=BB4_88 Depth=2
	v_lshlrev_b32_e32 v3, 6, v17
	v_sub_u32_e32 v3, v16, v3
	v_lshlrev_b32_e32 v4, 6, v18
	v_sub_u32_e32 v3, v3, v4
	v_add_u32_e32 v4, v2, v3
	v_sub_u32_e32 v9, v9, v4
	v_cmp_lt_i32_e32 vcc, 0, v9
	s_and_b64 exec, exec, vcc
	s_cbranch_execz .LBB4_211
; %bb.209:                              ;   in Loop: Header=BB4_88 Depth=2
	s_trap 2
	ds_read_b64 v[2:3], v0
	v_add_u32_e32 v4, v4, v1
	v_ashrrev_i32_e32 v5, 31, v4
	s_mov_b64 s[34:35], 0
.LBB4_210:                              ;   Parent Loop BB4_83 Depth=1
                                        ;     Parent Loop BB4_88 Depth=2
                                        ; =>    This Inner Loop Header: Depth=3
	s_waitcnt lgkmcnt(0)
	v_add_co_u32_e32 v14, vcc, v2, v4
	v_addc_co_u32_e32 v15, vcc, v3, v5, vcc
	flat_load_ubyte v1, v[14:15] glc slc
	v_add_co_u32_e32 v4, vcc, v4, v21
	v_sub_u32_e32 v9, v9, v25
	v_addc_co_u32_e32 v5, vcc, v5, v8, vcc
	v_cmp_gt_i32_e32 vcc, 1, v9
	s_or_b64 s[34:35], vcc, s[34:35]
	s_waitcnt vmcnt(0) lgkmcnt(0)
	flat_store_byte v[14:15], v1 glc slc
	s_andn2_b64 exec, exec, s[34:35]
	s_cbranch_execnz .LBB4_210
.LBB4_211:                              ;   in Loop: Header=BB4_88 Depth=2
	s_or_b64 exec, exec, s[30:31]
.LBB4_212:                              ;   in Loop: Header=BB4_88 Depth=2
	s_or_b64 exec, exec, s[28:29]
.LBB4_213:                              ;   in Loop: Header=BB4_88 Depth=2
	s_and_saveexec_b64 s[28:29], s[10:11]
	s_cbranch_execz .LBB4_232
; %bb.214:                              ;   in Loop: Header=BB4_88 Depth=2
	s_and_saveexec_b64 vcc, s[46:47]
	s_xor_b64 s[30:31], exec, vcc
	s_cbranch_execz .LBB4_229
; %bb.215:                              ;   in Loop: Header=BB4_88 Depth=2
	s_and_saveexec_b64 s[34:35], s[16:17]
	s_cbranch_execz .LBB4_228
; %bb.216:                              ;   in Loop: Header=BB4_88 Depth=2
	s_mov_b64 s[60:61], exec
	v_mbcnt_lo_u32_b32 v1, s60, 0
	v_mbcnt_hi_u32_b32 v1, s61, v1
	v_cmp_eq_u32_e32 vcc, 0, v1
	s_waitcnt vmcnt(0) lgkmcnt(0)
	buffer_wbinvl1_vol
	s_and_saveexec_b64 s[36:37], vcc
	s_cbranch_execz .LBB4_218
; %bb.217:                              ;   in Loop: Header=BB4_88 Depth=2
	s_bcnt1_i32_b64 vcc_lo, s[60:61]
	v_mov_b32_e32 v48, vcc_lo
	ds_add_u64 v0, v[48:49]
	s_trap 2
.LBB4_218:                              ;   in Loop: Header=BB4_88 Depth=2
	s_or_b64 exec, exec, s[36:37]
	s_trap 2
	ds_read_b64 v[2:3], v0
	v_add_co_u32_e32 v34, vcc, v34, v50
	v_addc_co_u32_e32 v35, vcc, 0, v35, vcc
	s_waitcnt lgkmcnt(0)
	v_cmp_lt_u64_e32 vcc, v[2:3], v[34:35]
	s_and_saveexec_b64 s[36:37], vcc
	s_cbranch_execz .LBB4_227
; %bb.219:                              ;   in Loop: Header=BB4_88 Depth=2
	s_mov_b32 s77, 0
	s_mov_b64 s[60:61], 0
                                        ; implicit-def: $sgpr62_sgpr63
                                        ; implicit-def: $sgpr64_sgpr65
	s_branch .LBB4_221
.LBB4_220:                              ;   in Loop: Header=BB4_221 Depth=3
	s_or_b64 exec, exec, s[68:69]
	s_and_b64 vcc, exec, vcc
	s_or_b64 s[60:61], vcc, s[60:61]
	s_andn2_b64 vcc, s[62:63], exec
	s_and_b64 s[62:63], s[64:65], exec
	s_or_b64 s[62:63], vcc, s[62:63]
	s_andn2_b64 exec, exec, s[60:61]
	s_cbranch_execz .LBB4_225
.LBB4_221:                              ;   Parent Loop BB4_83 Depth=1
                                        ;     Parent Loop BB4_88 Depth=2
                                        ; =>    This Inner Loop Header: Depth=3
	s_add_i32 s77, s77, 1
	s_cmpk_lg_i32 s77, 0x2710
	s_cselect_b64 s[66:67], -1, 0
	s_and_b64 vcc, exec, s[66:67]
                                        ; implicit-def: $sgpr68_sgpr69
	s_cbranch_vccnz .LBB4_223
; %bb.222:                              ;   in Loop: Header=BB4_221 Depth=3
	s_trap 2
	ds_read_b64 v[2:3], v0
	s_andn2_b64 s[66:67], s[66:67], exec
	s_mov_b32 s77, 0
	s_mov_b64 s[68:69], -1
	s_waitcnt lgkmcnt(0)
	flat_load_dword v1, v[2:3] glc
	s_waitcnt vmcnt(0) lgkmcnt(0)
	buffer_invl2
	buffer_wbinvl1_vol
	v_cmp_eq_u32_e32 vcc, 0, v1
	s_and_b64 vcc, vcc, exec
	s_or_b64 s[66:67], s[66:67], vcc
.LBB4_223:                              ;   in Loop: Header=BB4_221 Depth=3
	s_andn2_b64 s[64:65], s[64:65], exec
	s_and_b64 s[68:69], s[68:69], exec
	s_mov_b64 vcc, -1
	s_or_b64 s[64:65], s[64:65], s[68:69]
	s_and_saveexec_b64 s[68:69], s[66:67]
	s_cbranch_execz .LBB4_220
; %bb.224:                              ;   in Loop: Header=BB4_221 Depth=3
	s_sleep 1
	s_trap 2
	ds_read_b64 v[2:3], v0
	s_andn2_b64 s[64:65], s[64:65], exec
	s_waitcnt lgkmcnt(0)
	v_cmp_ge_u64_e32 vcc, v[2:3], v[34:35]
	s_orn2_b64 vcc, vcc, exec
	s_branch .LBB4_220
.LBB4_225:                              ;   in Loop: Header=BB4_88 Depth=2
	s_or_b64 exec, exec, s[60:61]
	s_and_saveexec_b64 vcc, s[62:63]
	s_xor_b64 vcc, exec, vcc
	s_cbranch_execz .LBB4_227
; %bb.226:                              ;   in Loop: Header=BB4_88 Depth=2
	ds_write_b32 v0, v46
	s_trap 2
.LBB4_227:                              ;   in Loop: Header=BB4_88 Depth=2
	s_or_b64 exec, exec, s[36:37]
	;;#ASMSTART
	s_wakeup
	;;#ASMEND
.LBB4_228:                              ;   in Loop: Header=BB4_88 Depth=2
	s_or_b64 exec, exec, s[34:35]
.LBB4_229:                              ;   in Loop: Header=BB4_88 Depth=2
	s_andn2_saveexec_b64 vcc, s[30:31]
	s_cbranch_execz .LBB4_231
; %bb.230:                              ;   in Loop: Header=BB4_88 Depth=2
	s_waitcnt vmcnt(0) lgkmcnt(0)
	buffer_wbinvl1_vol
	s_barrier
.LBB4_231:                              ;   in Loop: Header=BB4_88 Depth=2
	s_or_b64 exec, exec, vcc
.LBB4_232:                              ;   in Loop: Header=BB4_88 Depth=2
	s_or_b64 exec, exec, s[28:29]
	v_and_b32_e32 v2, 16, v62
	s_and_saveexec_b64 s[28:29], s[24:25]
	s_xor_b64 s[30:31], exec, s[28:29]
	s_cbranch_execz .LBB4_237
; %bb.233:                              ;   in Loop: Header=BB4_88 Depth=2
	v_and_b32_e32 v1, 16, v62
	v_cmp_lt_i32_e32 vcc, 0, v59
	v_cmp_ne_u32_e64 s[28:29], 0, v1
	v_and_b32_e32 v2, 16, v62
	s_and_b64 vcc, s[28:29], vcc
	s_and_saveexec_b64 s[28:29], vcc
	s_cbranch_execz .LBB4_235
; %bb.234:                              ;   in Loop: Header=BB4_88 Depth=2
	v_mov_b32_e32 v2, 1
	s_waitcnt vmcnt(0) lgkmcnt(0)
	buffer_wbinvl1_vol
.LBB4_235:                              ;   in Loop: Header=BB4_88 Depth=2
	s_or_b64 exec, exec, s[28:29]
	s_andn2_saveexec_b64 s[28:29], s[30:31]
	s_cbranch_execnz .LBB4_238
.LBB4_236:                              ;   in Loop: Header=BB4_88 Depth=2
	s_or_b64 exec, exec, s[28:29]
	v_cmp_ne_u32_e32 vcc, 0, v2
	s_and_saveexec_b64 s[28:29], vcc
	s_cbranch_execz .LBB4_87
	s_branch .LBB4_256
.LBB4_237:                              ;   in Loop: Header=BB4_88 Depth=2
	s_andn2_saveexec_b64 s[28:29], s[30:31]
	s_cbranch_execz .LBB4_236
.LBB4_238:                              ;   in Loop: Header=BB4_88 Depth=2
	s_and_saveexec_b64 vcc, s[46:47]
	s_xor_b64 s[30:31], exec, vcc
	s_cbranch_execz .LBB4_253
; %bb.239:                              ;   in Loop: Header=BB4_88 Depth=2
	s_and_saveexec_b64 s[34:35], s[16:17]
	s_cbranch_execz .LBB4_252
; %bb.240:                              ;   in Loop: Header=BB4_88 Depth=2
	s_mov_b64 s[60:61], exec
	v_mbcnt_lo_u32_b32 v1, s60, 0
	v_mbcnt_hi_u32_b32 v1, s61, v1
	v_cmp_eq_u32_e32 vcc, 0, v1
	;;#ASMSTART
	s_waitcnt lgkmcnt(0) vmcnt(0)
	;;#ASMEND
	s_and_saveexec_b64 s[36:37], vcc
	s_cbranch_execz .LBB4_242
; %bb.241:                              ;   in Loop: Header=BB4_88 Depth=2
	s_bcnt1_i32_b64 vcc_lo, s[60:61]
	v_mov_b32_e32 v48, vcc_lo
	ds_add_u64 v0, v[48:49]
	s_trap 2
.LBB4_242:                              ;   in Loop: Header=BB4_88 Depth=2
	s_or_b64 exec, exec, s[36:37]
	s_trap 2
	ds_read_b64 v[4:5], v0
	v_add_co_u32_e32 v34, vcc, v34, v50
	v_addc_co_u32_e32 v35, vcc, 0, v35, vcc
	s_waitcnt lgkmcnt(0)
	v_cmp_lt_u64_e32 vcc, v[4:5], v[34:35]
	s_and_saveexec_b64 s[36:37], vcc
	s_cbranch_execz .LBB4_251
; %bb.243:                              ;   in Loop: Header=BB4_88 Depth=2
	s_mov_b32 s77, 0
	s_mov_b64 s[60:61], 0
                                        ; implicit-def: $sgpr62_sgpr63
                                        ; implicit-def: $sgpr64_sgpr65
	s_branch .LBB4_245
.LBB4_244:                              ;   in Loop: Header=BB4_245 Depth=3
	s_or_b64 exec, exec, s[68:69]
	s_and_b64 vcc, exec, vcc
	s_or_b64 s[60:61], vcc, s[60:61]
	s_andn2_b64 vcc, s[62:63], exec
	s_and_b64 s[62:63], s[64:65], exec
	s_or_b64 s[62:63], vcc, s[62:63]
	s_andn2_b64 exec, exec, s[60:61]
	s_cbranch_execz .LBB4_249
.LBB4_245:                              ;   Parent Loop BB4_83 Depth=1
                                        ;     Parent Loop BB4_88 Depth=2
                                        ; =>    This Inner Loop Header: Depth=3
	s_add_i32 s77, s77, 1
	s_cmpk_lg_i32 s77, 0x2710
	s_cselect_b64 s[66:67], -1, 0
	s_and_b64 vcc, exec, s[66:67]
                                        ; implicit-def: $sgpr68_sgpr69
	s_cbranch_vccnz .LBB4_247
; %bb.246:                              ;   in Loop: Header=BB4_245 Depth=3
	s_trap 2
	ds_read_b64 v[4:5], v0
	s_andn2_b64 s[66:67], s[66:67], exec
	s_mov_b32 s77, 0
	s_mov_b64 s[68:69], -1
	s_waitcnt vmcnt(0) lgkmcnt(0)
	flat_load_dword v1, v[4:5] glc
	s_waitcnt vmcnt(0) lgkmcnt(0)
	buffer_invl2
	buffer_wbinvl1_vol
	v_cmp_eq_u32_e32 vcc, 0, v1
	s_and_b64 vcc, vcc, exec
	s_or_b64 s[66:67], s[66:67], vcc
.LBB4_247:                              ;   in Loop: Header=BB4_245 Depth=3
	s_andn2_b64 s[64:65], s[64:65], exec
	s_and_b64 s[68:69], s[68:69], exec
	s_mov_b64 vcc, -1
	s_or_b64 s[64:65], s[64:65], s[68:69]
	s_and_saveexec_b64 s[68:69], s[66:67]
	s_cbranch_execz .LBB4_244
; %bb.248:                              ;   in Loop: Header=BB4_245 Depth=3
	s_sleep 1
	s_trap 2
	ds_read_b64 v[4:5], v0
	s_andn2_b64 s[64:65], s[64:65], exec
	s_waitcnt lgkmcnt(0)
	v_cmp_ge_u64_e32 vcc, v[4:5], v[34:35]
	s_orn2_b64 vcc, vcc, exec
	s_branch .LBB4_244
.LBB4_249:                              ;   in Loop: Header=BB4_88 Depth=2
	s_or_b64 exec, exec, s[60:61]
	s_and_saveexec_b64 vcc, s[62:63]
	s_xor_b64 vcc, exec, vcc
	s_cbranch_execz .LBB4_251
; %bb.250:                              ;   in Loop: Header=BB4_88 Depth=2
	ds_write_b32 v0, v46
	s_trap 2
.LBB4_251:                              ;   in Loop: Header=BB4_88 Depth=2
	s_or_b64 exec, exec, s[36:37]
	;;#ASMSTART
	s_wakeup
	;;#ASMEND
.LBB4_252:                              ;   in Loop: Header=BB4_88 Depth=2
	s_or_b64 exec, exec, s[34:35]
.LBB4_253:                              ;   in Loop: Header=BB4_88 Depth=2
	s_andn2_saveexec_b64 vcc, s[30:31]
	s_cbranch_execz .LBB4_255
; %bb.254:                              ;   in Loop: Header=BB4_88 Depth=2
	;;#ASMSTART
	s_waitcnt lgkmcnt(0) vmcnt(0)
	;;#ASMEND
	s_barrier
.LBB4_255:                              ;   in Loop: Header=BB4_88 Depth=2
	s_or_b64 exec, exec, vcc
	s_or_b64 exec, exec, s[28:29]
	v_cmp_ne_u32_e32 vcc, 0, v2
	s_and_saveexec_b64 s[28:29], vcc
	s_cbranch_execz .LBB4_87
.LBB4_256:                              ;   in Loop: Header=BB4_88 Depth=2
	s_and_saveexec_b64 vcc, s[14:15]
	s_cbranch_execz .LBB4_86
; %bb.257:                              ;   in Loop: Header=BB4_88 Depth=2
	flat_store_dword v[36:37], v46
	s_branch .LBB4_86
.LBB4_258:                              ;   in Loop: Header=BB4_83 Depth=1
	s_andn2_saveexec_b64 s[30:31], s[52:53]
	s_cbranch_execz .LBB4_544
.LBB4_259:                              ;   in Loop: Header=BB4_83 Depth=1
	v_mov_b32_e32 v1, 0
	v_mov_b32_e32 v2, v24
	;; [unrolled: 1-line block ×3, first 2 shown]
	s_and_saveexec_b64 s[34:35], s[26:27]
	s_cbranch_execz .LBB4_471
; %bb.260:                              ;   in Loop: Header=BB4_83 Depth=1
	s_mov_b32 s76, 1
	s_mov_b64 s[52:53], -1
	s_mov_b64 s[36:37], 0
	v_mov_b32_e32 v22, 0
	v_mov_b32_e32 v2, v24
	s_branch .LBB4_263
.LBB4_261:                              ;   in Loop: Header=BB4_263 Depth=2
	s_or_b64 exec, exec, vcc
	v_add_co_u32_e32 v26, vcc, 2, v26
	v_addc_co_u32_e32 v27, vcc, 0, v27, vcc
	flat_store_dwordx2 v[28:29], v[26:27]
.LBB4_262:                              ;   in Loop: Header=BB4_263 Depth=2
	s_or_b64 exec, exec, s[28:29]
	v_add_u32_e32 v22, v2, v22
	v_cmp_ge_i32_e32 vcc, v22, v7
	s_xor_b64 s[28:29], s[52:53], -1
	s_or_b64 s[28:29], s[28:29], vcc
	s_and_b64 s[28:29], exec, s[28:29]
	s_or_b64 s[36:37], s[28:29], s[36:37]
	s_mov_b64 s[52:53], 0
	v_mov_b32_e32 v1, s76
	s_mov_b32 s76, 2
	s_andn2_b64 exec, exec, s[36:37]
	s_cbranch_execz .LBB4_470
.LBB4_263:                              ;   Parent Loop BB4_83 Depth=1
                                        ; =>  This Loop Header: Depth=2
                                        ;       Child Loop BB4_271 Depth 3
                                        ;       Child Loop BB4_295 Depth 3
	;; [unrolled: 1-line block ×9, first 2 shown]
	s_and_saveexec_b64 s[28:29], s[4:5]
	s_cbranch_execz .LBB4_265
; %bb.264:                              ;   in Loop: Header=BB4_263 Depth=2
	s_trap 2
	ds_read_b64 v[4:5], v0
	v_accvgpr_read_b32 v14, a28
	v_accvgpr_read_b32 v15, a29
	v_mov_b32_e32 v48, v49
	ds_write_b64 v0, v[48:49]
	s_waitcnt lgkmcnt(0)
	v_add_co_u32_e32 v1, vcc, v4, v14
	v_addc_co_u32_e32 v3, vcc, v5, v15, vcc
	v_ashrrev_i32_e32 v5, 31, v22
	v_add_co_u32_e32 v4, vcc, v1, v22
	v_addc_co_u32_e32 v5, vcc, v3, v5, vcc
	ds_write_b64 v0, v[4:5]
.LBB4_265:                              ;   in Loop: Header=BB4_263 Depth=2
	s_or_b64 exec, exec, s[28:29]
	v_and_b32_e32 v1, 8, v62
	v_cmp_ne_u32_e32 vcc, 0, v1
	s_mov_b64 s[54:55], -1
	s_and_saveexec_b64 s[28:29], vcc
	s_cbranch_execz .LBB4_277
; %bb.266:                              ;   in Loop: Header=BB4_263 Depth=2
	v_add_co_u32_e32 v14, vcc, 8, v38
	v_addc_co_u32_e32 v15, vcc, 0, v39, vcc
	v_add_co_u32_e32 v4, vcc, 2, v26
	v_addc_co_u32_e32 v5, vcc, 0, v27, vcc
	v_cmp_lt_u64_e32 vcc, v[14:15], v[4:5]
	v_mov_b32_e32 v1, 1
	s_and_saveexec_b64 s[54:55], vcc
	s_cbranch_execz .LBB4_276
; %bb.267:                              ;   in Loop: Header=BB4_263 Depth=2
	s_mov_b64 s[56:57], 0
	v_mov_b32_e32 v1, 0
                                        ; implicit-def: $sgpr58_sgpr59
	s_branch .LBB4_271
.LBB4_268:                              ;   in Loop: Header=BB4_271 Depth=3
	s_or_b64 exec, exec, s[66:67]
	v_mov_b32_e32 v3, 0
	s_orn2_b64 s[64:65], s[64:65], exec
.LBB4_269:                              ;   in Loop: Header=BB4_271 Depth=3
	s_or_b64 exec, exec, s[62:63]
	s_andn2_b64 vcc, s[58:59], exec
	s_and_b64 s[58:59], s[64:65], exec
	s_or_b64 s[58:59], vcc, s[58:59]
	v_mov_b32_e32 v1, v3
.LBB4_270:                              ;   in Loop: Header=BB4_271 Depth=3
	s_or_b64 exec, exec, s[60:61]
	s_waitcnt vmcnt(0) lgkmcnt(0)
	v_add_co_u32_e32 v14, vcc, 8, v38
	v_addc_co_u32_e32 v15, vcc, 0, v39, vcc
	v_cmp_ge_u64_e32 vcc, v[14:15], v[4:5]
	s_xor_b64 s[60:61], s[58:59], -1
	s_or_b64 vcc, s[60:61], vcc
	s_and_b64 vcc, exec, vcc
	s_or_b64 s[56:57], vcc, s[56:57]
	s_andn2_b64 exec, exec, s[56:57]
	s_cbranch_execz .LBB4_275
.LBB4_271:                              ;   Parent Loop BB4_83 Depth=1
                                        ;     Parent Loop BB4_263 Depth=2
                                        ; =>    This Inner Loop Header: Depth=3
	s_sleep 1
	flat_load_dwordx2 v[38:39], v[28:29] glc
	v_and_b32_e32 v3, 64, v62
	v_cmp_eq_u32_e32 vcc, 0, v3
	s_andn2_b64 s[58:59], s[58:59], exec
	s_and_saveexec_b64 s[60:61], vcc
	s_cbranch_execz .LBB4_270
; %bb.272:                              ;   in Loop: Header=BB4_271 Depth=3
	v_add_u32_e32 v3, 1, v1
	v_cmp_lt_i32_e32 vcc, s72, v1
	s_mov_b64 s[64:65], -1
	s_and_saveexec_b64 s[62:63], vcc
	s_cbranch_execz .LBB4_269
; %bb.273:                              ;   in Loop: Header=BB4_271 Depth=3
	s_trap 2
	ds_read_b64 v[14:15], v0
	s_waitcnt vmcnt(0) lgkmcnt(0)
	flat_load_dword v1, v[14:15] glc
	s_waitcnt vmcnt(0) lgkmcnt(0)
	buffer_invl2
	buffer_wbinvl1_vol
	v_cmp_ne_u32_e32 vcc, 0, v1
	s_and_saveexec_b64 s[66:67], vcc
	s_cbranch_execz .LBB4_268
; %bb.274:                              ;   in Loop: Header=BB4_271 Depth=3
	v_or_b32_e32 v62, 64, v62
	s_xor_b64 s[64:65], exec, -1
	ds_write_b32 v0, v1
	s_trap 2
	s_branch .LBB4_268
.LBB4_275:                              ;   in Loop: Header=BB4_263 Depth=2
	s_or_b64 exec, exec, s[56:57]
	v_and_b32_e32 v1, 8, v62
.LBB4_276:                              ;   in Loop: Header=BB4_263 Depth=2
	s_or_b64 exec, exec, s[54:55]
	v_cmp_eq_u32_e32 vcc, 0, v1
	s_orn2_b64 s[54:55], vcc, exec
	;;#ASMSTART
	s_wakeup
	;;#ASMEND
.LBB4_277:                              ;   in Loop: Header=BB4_263 Depth=2
	s_or_b64 exec, exec, s[28:29]
	v_sub_u32_e32 v1, v7, v22
	s_xor_b64 s[28:29], s[54:55], -1
	v_min_i32_e32 v2, v2, v1
	s_and_saveexec_b64 s[54:55], s[28:29]
	s_cbranch_execz .LBB4_287
; %bb.278:                              ;   in Loop: Header=BB4_263 Depth=2
	v_and_b32_e32 v1, 0x100, v62
	v_cmp_ne_u32_e32 vcc, 0, v1
	v_and_b32_e32 v1, 7, v26
	s_mov_b64 s[28:29], -1
                                        ; implicit-def: $vgpr4_vgpr5
	s_and_saveexec_b64 s[56:57], vcc
	s_cbranch_execz .LBB4_282
; %bb.279:                              ;   in Loop: Header=BB4_263 Depth=2
	v_mad_u64_u32 v[14:15], s[28:29], v1, 24, v[12:13]
	flat_load_dword v4, v[14:15]
	v_ashrrev_i32_e32 v3, 31, v2
	flat_store_dwordx2 v[14:15], v[2:3] offset:8
	s_waitcnt vmcnt(0) lgkmcnt(0)
	v_cmp_ne_u32_e32 vcc, 1, v4
	v_cmp_eq_u32_e64 s[28:29], 1, v4
                                        ; implicit-def: $vgpr4_vgpr5
	s_and_saveexec_b64 s[58:59], s[28:29]
	s_cbranch_execz .LBB4_281
; %bb.280:                              ;   in Loop: Header=BB4_263 Depth=2
	flat_load_dword v4, v[14:15] offset:4 glc
	s_waitcnt vmcnt(0) lgkmcnt(0)
	v_ashrrev_i32_e32 v5, 31, v4
.LBB4_281:                              ;   in Loop: Header=BB4_263 Depth=2
	s_or_b64 exec, exec, s[58:59]
	s_orn2_b64 s[28:29], vcc, exec
.LBB4_282:                              ;   in Loop: Header=BB4_263 Depth=2
	s_or_b64 exec, exec, s[56:57]
	s_and_saveexec_b64 vcc, s[28:29]
; %bb.283:                              ;   in Loop: Header=BB4_263 Depth=2
	v_mad_i64_i32 v[4:5], s[28:29], v1, v30, 0
; %bb.284:                              ;   in Loop: Header=BB4_263 Depth=2
	s_or_b64 exec, exec, vcc
	v_add_co_u32_e32 v4, vcc, v32, v4
	v_addc_co_u32_e32 v5, vcc, v33, v5, vcc
	v_and_b32_e32 v1, 0x2000, v62
	v_cmp_ne_u32_e32 vcc, 0, v1
	ds_write_b64 v0, v[4:5] offset:784
	s_and_saveexec_b64 s[28:29], vcc
	s_cbranch_execz .LBB4_286
; %bb.285:                              ;   in Loop: Header=BB4_263 Depth=2
	ds_read_b64 v[4:5], v0 offset:584
	s_waitcnt lgkmcnt(0)
	v_add_co_u32_e32 v4, vcc, 1, v4
	v_addc_co_u32_e32 v5, vcc, 0, v5, vcc
	ds_write_b64 v0, v[4:5] offset:584
.LBB4_286:                              ;   in Loop: Header=BB4_263 Depth=2
	s_or_b64 exec, exec, s[28:29]
	v_add_co_u32_e32 v26, vcc, 2, v26
	v_addc_co_u32_e32 v27, vcc, 0, v27, vcc
.LBB4_287:                              ;   in Loop: Header=BB4_263 Depth=2
	s_or_b64 exec, exec, s[54:55]
	s_and_saveexec_b64 s[28:29], s[10:11]
	s_cbranch_execz .LBB4_306
; %bb.288:                              ;   in Loop: Header=BB4_263 Depth=2
	s_and_saveexec_b64 vcc, s[46:47]
	s_xor_b64 s[54:55], exec, vcc
	s_cbranch_execz .LBB4_303
; %bb.289:                              ;   in Loop: Header=BB4_263 Depth=2
	s_and_saveexec_b64 s[56:57], s[16:17]
	s_cbranch_execz .LBB4_302
; %bb.290:                              ;   in Loop: Header=BB4_263 Depth=2
	s_mov_b64 s[60:61], exec
	v_mbcnt_lo_u32_b32 v1, s60, 0
	v_mbcnt_hi_u32_b32 v1, s61, v1
	v_cmp_eq_u32_e32 vcc, 0, v1
	s_waitcnt vmcnt(0) lgkmcnt(0)
	buffer_wbinvl1_vol
	s_and_saveexec_b64 s[58:59], vcc
	s_cbranch_execz .LBB4_292
; %bb.291:                              ;   in Loop: Header=BB4_263 Depth=2
	s_bcnt1_i32_b64 vcc_lo, s[60:61]
	v_mov_b32_e32 v48, vcc_lo
	ds_add_u64 v0, v[48:49]
	s_trap 2
.LBB4_292:                              ;   in Loop: Header=BB4_263 Depth=2
	s_or_b64 exec, exec, s[58:59]
	s_trap 2
	ds_read_b64 v[4:5], v0
	v_add_co_u32_e32 v34, vcc, v34, v50
	v_addc_co_u32_e32 v35, vcc, 0, v35, vcc
	s_waitcnt lgkmcnt(0)
	v_cmp_lt_u64_e32 vcc, v[4:5], v[34:35]
	s_and_saveexec_b64 s[58:59], vcc
	s_cbranch_execz .LBB4_301
; %bb.293:                              ;   in Loop: Header=BB4_263 Depth=2
	s_mov_b32 s77, 0
	s_mov_b64 s[60:61], 0
                                        ; implicit-def: $sgpr62_sgpr63
                                        ; implicit-def: $sgpr64_sgpr65
	s_branch .LBB4_295
.LBB4_294:                              ;   in Loop: Header=BB4_295 Depth=3
	s_or_b64 exec, exec, s[68:69]
	s_and_b64 vcc, exec, vcc
	s_or_b64 s[60:61], vcc, s[60:61]
	s_andn2_b64 vcc, s[62:63], exec
	s_and_b64 s[62:63], s[64:65], exec
	s_or_b64 s[62:63], vcc, s[62:63]
	s_andn2_b64 exec, exec, s[60:61]
	s_cbranch_execz .LBB4_299
.LBB4_295:                              ;   Parent Loop BB4_83 Depth=1
                                        ;     Parent Loop BB4_263 Depth=2
                                        ; =>    This Inner Loop Header: Depth=3
	s_add_i32 s77, s77, 1
	s_cmpk_lg_i32 s77, 0x2710
	s_cselect_b64 s[66:67], -1, 0
	s_and_b64 vcc, exec, s[66:67]
                                        ; implicit-def: $sgpr68_sgpr69
	s_cbranch_vccnz .LBB4_297
; %bb.296:                              ;   in Loop: Header=BB4_295 Depth=3
	s_trap 2
	ds_read_b64 v[4:5], v0
	s_andn2_b64 s[66:67], s[66:67], exec
	s_mov_b32 s77, 0
	s_mov_b64 s[68:69], -1
	s_waitcnt lgkmcnt(0)
	flat_load_dword v1, v[4:5] glc
	s_waitcnt vmcnt(0) lgkmcnt(0)
	buffer_invl2
	buffer_wbinvl1_vol
	v_cmp_eq_u32_e32 vcc, 0, v1
	s_and_b64 vcc, vcc, exec
	s_or_b64 s[66:67], s[66:67], vcc
.LBB4_297:                              ;   in Loop: Header=BB4_295 Depth=3
	s_andn2_b64 s[64:65], s[64:65], exec
	s_and_b64 s[68:69], s[68:69], exec
	s_mov_b64 vcc, -1
	s_or_b64 s[64:65], s[64:65], s[68:69]
	s_and_saveexec_b64 s[68:69], s[66:67]
	s_cbranch_execz .LBB4_294
; %bb.298:                              ;   in Loop: Header=BB4_295 Depth=3
	s_sleep 1
	s_trap 2
	ds_read_b64 v[4:5], v0
	s_andn2_b64 s[64:65], s[64:65], exec
	s_waitcnt lgkmcnt(0)
	v_cmp_ge_u64_e32 vcc, v[4:5], v[34:35]
	s_orn2_b64 vcc, vcc, exec
	s_branch .LBB4_294
.LBB4_299:                              ;   in Loop: Header=BB4_263 Depth=2
	s_or_b64 exec, exec, s[60:61]
	s_and_saveexec_b64 vcc, s[62:63]
	s_xor_b64 vcc, exec, vcc
	s_cbranch_execz .LBB4_301
; %bb.300:                              ;   in Loop: Header=BB4_263 Depth=2
	ds_write_b32 v0, v46
	s_trap 2
.LBB4_301:                              ;   in Loop: Header=BB4_263 Depth=2
	s_or_b64 exec, exec, s[58:59]
	;;#ASMSTART
	s_wakeup
	;;#ASMEND
.LBB4_302:                              ;   in Loop: Header=BB4_263 Depth=2
	s_or_b64 exec, exec, s[56:57]
.LBB4_303:                              ;   in Loop: Header=BB4_263 Depth=2
	s_andn2_saveexec_b64 vcc, s[54:55]
	s_cbranch_execz .LBB4_305
; %bb.304:                              ;   in Loop: Header=BB4_263 Depth=2
	s_waitcnt vmcnt(0) lgkmcnt(0)
	buffer_wbinvl1_vol
	s_barrier
.LBB4_305:                              ;   in Loop: Header=BB4_263 Depth=2
	s_or_b64 exec, exec, vcc
.LBB4_306:                              ;   in Loop: Header=BB4_263 Depth=2
	s_or_b64 exec, exec, s[28:29]
	s_trap 2
	ds_read_b32 v3, v0
	v_and_b32_e32 v1, 0x4000, v62
	v_cmp_ne_u32_e32 vcc, 0, v1
	s_xor_b64 s[28:29], s[6:7], -1
	s_and_b64 vcc, s[28:29], vcc
	s_and_saveexec_b64 s[28:29], vcc
	s_cbranch_execz .LBB4_325
; %bb.307:                              ;   in Loop: Header=BB4_263 Depth=2
	s_and_saveexec_b64 vcc, s[46:47]
	s_xor_b64 s[54:55], exec, vcc
	s_cbranch_execz .LBB4_322
; %bb.308:                              ;   in Loop: Header=BB4_263 Depth=2
	s_and_saveexec_b64 s[56:57], s[16:17]
	s_cbranch_execz .LBB4_321
; %bb.309:                              ;   in Loop: Header=BB4_263 Depth=2
	s_mov_b64 s[60:61], exec
	v_mbcnt_lo_u32_b32 v1, s60, 0
	v_mbcnt_hi_u32_b32 v1, s61, v1
	v_cmp_eq_u32_e32 vcc, 0, v1
	s_waitcnt vmcnt(0) lgkmcnt(0)
	buffer_wbinvl1_vol
	s_and_saveexec_b64 s[58:59], vcc
	s_cbranch_execz .LBB4_311
; %bb.310:                              ;   in Loop: Header=BB4_263 Depth=2
	s_bcnt1_i32_b64 vcc_lo, s[60:61]
	v_mov_b32_e32 v48, vcc_lo
	ds_add_u64 v0, v[48:49]
	s_trap 2
.LBB4_311:                              ;   in Loop: Header=BB4_263 Depth=2
	s_or_b64 exec, exec, s[58:59]
	s_trap 2
	ds_read_b64 v[4:5], v0
	v_add_co_u32_e32 v34, vcc, v34, v50
	v_addc_co_u32_e32 v35, vcc, 0, v35, vcc
	s_waitcnt lgkmcnt(0)
	v_cmp_lt_u64_e32 vcc, v[4:5], v[34:35]
	s_and_saveexec_b64 s[58:59], vcc
	s_cbranch_execz .LBB4_320
; %bb.312:                              ;   in Loop: Header=BB4_263 Depth=2
	s_mov_b32 s77, 0
	s_mov_b64 s[60:61], 0
                                        ; implicit-def: $sgpr62_sgpr63
                                        ; implicit-def: $sgpr64_sgpr65
	s_branch .LBB4_314
.LBB4_313:                              ;   in Loop: Header=BB4_314 Depth=3
	s_or_b64 exec, exec, s[68:69]
	s_and_b64 vcc, exec, vcc
	s_or_b64 s[60:61], vcc, s[60:61]
	s_andn2_b64 vcc, s[62:63], exec
	s_and_b64 s[62:63], s[64:65], exec
	s_or_b64 s[62:63], vcc, s[62:63]
	s_andn2_b64 exec, exec, s[60:61]
	s_cbranch_execz .LBB4_318
.LBB4_314:                              ;   Parent Loop BB4_83 Depth=1
                                        ;     Parent Loop BB4_263 Depth=2
                                        ; =>    This Inner Loop Header: Depth=3
	s_add_i32 s77, s77, 1
	s_cmpk_lg_i32 s77, 0x2710
	s_cselect_b64 s[66:67], -1, 0
	s_and_b64 vcc, exec, s[66:67]
                                        ; implicit-def: $sgpr68_sgpr69
	s_cbranch_vccnz .LBB4_316
; %bb.315:                              ;   in Loop: Header=BB4_314 Depth=3
	s_trap 2
	ds_read_b64 v[4:5], v0
	s_andn2_b64 s[66:67], s[66:67], exec
	s_mov_b32 s77, 0
	s_mov_b64 s[68:69], -1
	s_waitcnt lgkmcnt(0)
	flat_load_dword v1, v[4:5] glc
	s_waitcnt vmcnt(0) lgkmcnt(0)
	buffer_invl2
	buffer_wbinvl1_vol
	v_cmp_eq_u32_e32 vcc, 0, v1
	s_and_b64 vcc, vcc, exec
	s_or_b64 s[66:67], s[66:67], vcc
.LBB4_316:                              ;   in Loop: Header=BB4_314 Depth=3
	s_andn2_b64 s[64:65], s[64:65], exec
	s_and_b64 s[68:69], s[68:69], exec
	s_mov_b64 vcc, -1
	s_or_b64 s[64:65], s[64:65], s[68:69]
	s_and_saveexec_b64 s[68:69], s[66:67]
	s_cbranch_execz .LBB4_313
; %bb.317:                              ;   in Loop: Header=BB4_314 Depth=3
	s_sleep 1
	s_trap 2
	ds_read_b64 v[4:5], v0
	s_andn2_b64 s[64:65], s[64:65], exec
	s_waitcnt lgkmcnt(0)
	v_cmp_ge_u64_e32 vcc, v[4:5], v[34:35]
	s_orn2_b64 vcc, vcc, exec
	s_branch .LBB4_313
.LBB4_318:                              ;   in Loop: Header=BB4_263 Depth=2
	s_or_b64 exec, exec, s[60:61]
	s_and_saveexec_b64 vcc, s[62:63]
	s_xor_b64 vcc, exec, vcc
	s_cbranch_execz .LBB4_320
; %bb.319:                              ;   in Loop: Header=BB4_263 Depth=2
	ds_write_b32 v0, v46
	s_trap 2
.LBB4_320:                              ;   in Loop: Header=BB4_263 Depth=2
	s_or_b64 exec, exec, s[58:59]
	;;#ASMSTART
	s_wakeup
	;;#ASMEND
.LBB4_321:                              ;   in Loop: Header=BB4_263 Depth=2
	s_or_b64 exec, exec, s[56:57]
.LBB4_322:                              ;   in Loop: Header=BB4_263 Depth=2
	s_andn2_saveexec_b64 vcc, s[54:55]
	s_cbranch_execz .LBB4_324
; %bb.323:                              ;   in Loop: Header=BB4_263 Depth=2
	s_waitcnt vmcnt(0) lgkmcnt(0)
	buffer_wbinvl1_vol
	s_barrier
.LBB4_324:                              ;   in Loop: Header=BB4_263 Depth=2
	s_or_b64 exec, exec, vcc
.LBB4_325:                              ;   in Loop: Header=BB4_263 Depth=2
	s_or_b64 exec, exec, s[28:29]
	s_trap 2
	ds_read_b64 v[4:5], v0
	v_mov_b32_e32 v23, 0
	s_waitcnt lgkmcnt(0)
	v_readfirstlane_b32 s28, v4
	v_readfirstlane_b32 s29, v5
	s_cmp_eq_u64 s[28:29], 0
	s_cselect_b64 s[28:29], -1, 0
	s_or_b64 s[28:29], s[28:29], s[28:29]
	s_and_b64 vcc, exec, s[28:29]
	s_cbranch_vccnz .LBB4_353
; %bb.326:                              ;   in Loop: Header=BB4_263 Depth=2
	s_mov_b64 s[28:29], -1
	s_and_saveexec_b64 s[54:55], s[18:19]
	s_cbranch_execz .LBB4_328
; %bb.327:                              ;   in Loop: Header=BB4_263 Depth=2
	ds_read_b32 v1, v0 offset:720
	s_waitcnt lgkmcnt(0)
	v_and_b32_e32 v1, 15, v1
	v_cmp_eq_u32_e32 vcc, 0, v1
	s_orn2_b64 s[28:29], vcc, exec
.LBB4_328:                              ;   in Loop: Header=BB4_263 Depth=2
	s_or_b64 exec, exec, s[54:55]
	s_and_saveexec_b64 s[54:55], s[22:23]
	s_cbranch_execz .LBB4_330
; %bb.329:                              ;   in Loop: Header=BB4_263 Depth=2
	ds_read_b32 v1, v0 offset:784
	s_waitcnt lgkmcnt(0)
	v_and_b32_e32 v1, 15, v1
	v_cmp_eq_u32_e32 vcc, 0, v1
	s_and_b64 vcc, s[28:29], vcc
	s_andn2_b64 s[28:29], s[28:29], exec
	s_and_b64 vcc, vcc, exec
	s_or_b64 s[28:29], s[28:29], vcc
.LBB4_330:                              ;   in Loop: Header=BB4_263 Depth=2
	s_or_b64 exec, exec, s[54:55]
	v_cmp_eq_u32_e32 vcc, 0, v3
	s_xor_b64 s[28:29], s[28:29], -1
	v_cndmask_b32_e32 v23, 0, v2, vcc
	v_cndmask_b32_e64 v3, 0, 1, s[28:29]
	v_mov_b32_e32 v1, 0
	s_mov_b64 s[56:57], -1
	;;#ASMSTART
	;;#ASMEND
	v_cmp_ne_u32_e32 vcc, 0, v3
	v_mov_b32_e32 v9, v23
	v_mov_b32_e32 v15, v0
	s_cbranch_vccz .LBB4_332
; %bb.331:                              ;   in Loop: Header=BB4_263 Depth=2
	s_and_saveexec_b64 s[28:29], s[56:57]
	s_cbranch_execnz .LBB4_343
	s_branch .LBB4_352
.LBB4_332:                              ;   in Loop: Header=BB4_263 Depth=2
	v_ashrrev_i32_e32 v3, 31, v23
	v_lshrrev_b32_e32 v3, 22, v3
	v_add_u32_e32 v3, v23, v3
	v_ashrrev_i32_e32 v4, 10, v3
	v_and_b32_e32 v3, 0xfffffc00, v3
	v_sub_u32_e32 v18, v23, v3
	v_cmp_lt_i32_e32 vcc, 15, v18
	v_accvgpr_read_b32 v5, a24
	v_sub_u32_e32 v1, v23, v52
	v_addc_co_u32_e64 v17, s[28:29], v4, v5, vcc
	v_cmp_lt_i32_e64 s[28:29], 15, v1
	s_and_saveexec_b64 s[54:55], s[28:29]
	s_cbranch_execz .LBB4_336
; %bb.333:                              ;   in Loop: Header=BB4_263 Depth=2
	s_trap 2
	ds_read_b64 v[4:5], v0
	s_mov_b64 s[56:57], 0
	v_pk_mov_b32 v[14:15], v[52:53], v[52:53] op_sel:[0,1]
.LBB4_334:                              ;   Parent Loop BB4_83 Depth=1
                                        ;     Parent Loop BB4_263 Depth=2
                                        ; =>    This Inner Loop Header: Depth=3
	s_waitcnt lgkmcnt(0)
	v_add_co_u32_e64 v54, s[28:29], v4, v14
	v_addc_co_u32_e64 v55, s[28:29], v5, v15, s[28:29]
	global_load_dwordx4 v[58:61], v[54:55], off glc slc
	v_add_co_u32_e64 v14, s[28:29], v14, v11
	v_sub_u32_e32 v1, v1, v47
	v_addc_co_u32_e64 v15, s[28:29], v15, v6, s[28:29]
	v_cmp_gt_i32_e64 s[28:29], 16, v1
	v_sub_u32_e32 v17, v17, v50
	s_or_b64 s[56:57], s[28:29], s[56:57]
	s_waitcnt vmcnt(0)
	global_store_dwordx4 v[54:55], v[58:61], off glc slc
	s_andn2_b64 exec, exec, s[56:57]
	s_cbranch_execnz .LBB4_334
; %bb.335:                              ;   in Loop: Header=BB4_263 Depth=2
	s_or_b64 exec, exec, s[56:57]
	v_accvgpr_read_b32 v55, a21
	v_accvgpr_read_b32 v54, a20
.LBB4_336:                              ;   in Loop: Header=BB4_263 Depth=2
	s_or_b64 exec, exec, s[54:55]
	v_and_b32_e32 v4, 15, v23
	v_cndmask_b32_e32 v16, v18, v4, vcc
	v_cmp_ne_u32_e64 s[28:29], 0, v16
	s_mov_b64 s[56:57], 0
	v_mov_b32_e32 v1, 0
                                        ; implicit-def: $vgpr9
                                        ; implicit-def: $vgpr15
	s_and_saveexec_b64 s[54:55], s[28:29]
	s_cbranch_execz .LBB4_342
; %bb.337:                              ;   in Loop: Header=BB4_263 Depth=2
	v_sub_u32_e32 v1, v18, v4
	v_cndmask_b32_e32 v1, 0, v1, vcc
	v_cmp_lt_i32_e32 vcc, 0, v17
	v_add_u32_e32 v1, v1, v3
	v_cndmask_b32_e32 v3, 0, v50, vcc
	v_sub_u32_e32 v3, v3, v17
	v_accvgpr_read_b32 v4, a23
	v_lshl_add_u32 v3, v3, 6, v4
	v_ashrrev_i32_e32 v4, 31, v3
	v_lshrrev_b32_e32 v4, 26, v4
	v_add_u32_e32 v4, v3, v4
	v_ashrrev_i32_e32 v5, 6, v4
	v_and_b32_e32 v4, 0xffffffc0, v4
	v_sub_u32_e32 v15, v3, v4
	v_ashrrev_i32_e32 v4, 31, v16
	v_lshrrev_b32_e32 v4, 22, v4
	v_add_u32_e32 v4, v16, v4
	v_and_b32_e32 v9, 0xfffffc00, v4
	v_lshlrev_b32_e32 v3, 4, v15
	v_sub_u32_e32 v17, v16, v9
	v_lshl_add_u32 v3, v5, 10, v3
	v_ashrrev_i32_e32 v14, 10, v4
	v_cmp_lt_i32_e32 vcc, 15, v17
	v_sub_u32_e32 v19, v16, v3
	v_addc_co_u32_e64 v4, s[28:29], 0, v14, vcc
	v_sub_u32_e32 v18, v4, v5
	v_cmp_lt_i32_e64 s[28:29], 15, v19
	s_and_saveexec_b64 s[56:57], s[28:29]
	s_cbranch_execz .LBB4_341
; %bb.338:                              ;   in Loop: Header=BB4_263 Depth=2
	s_trap 2
	ds_read_b64 v[4:5], v0
	v_add_u32_e32 v14, v3, v1
	v_ashrrev_i32_e32 v3, 31, v14
	s_mov_b64 s[58:59], 0
.LBB4_339:                              ;   Parent Loop BB4_83 Depth=1
                                        ;     Parent Loop BB4_263 Depth=2
                                        ; =>    This Inner Loop Header: Depth=3
	s_waitcnt lgkmcnt(0)
	v_add_co_u32_e64 v54, s[28:29], v4, v14
	v_addc_co_u32_e64 v55, s[28:29], v5, v3, s[28:29]
	global_load_dwordx4 v[58:61], v[54:55], off glc slc
	v_add_co_u32_e64 v14, s[28:29], v14, v11
	v_sub_u32_e32 v19, v19, v47
	v_addc_co_u32_e64 v3, s[28:29], v3, v6, s[28:29]
	v_cmp_gt_i32_e64 s[28:29], 16, v19
	v_sub_u32_e32 v18, v18, v50
	s_or_b64 s[58:59], s[28:29], s[58:59]
	s_waitcnt vmcnt(0)
	global_store_dwordx4 v[54:55], v[58:61], off glc slc
	s_andn2_b64 exec, exec, s[58:59]
	s_cbranch_execnz .LBB4_339
; %bb.340:                              ;   in Loop: Header=BB4_263 Depth=2
	s_or_b64 exec, exec, s[58:59]
	v_accvgpr_read_b32 v55, a21
	v_accvgpr_read_b32 v54, a20
.LBB4_341:                              ;   in Loop: Header=BB4_263 Depth=2
	s_or_b64 exec, exec, s[56:57]
	v_and_b32_e32 v3, 15, v16
	v_sub_u32_e32 v4, v17, v3
	v_cndmask_b32_e32 v4, 0, v4, vcc
	v_add3_u32 v1, v9, v1, v4
	v_cndmask_b32_e32 v9, v17, v3, vcc
	v_cmp_lt_i32_e32 vcc, 0, v18
	v_cndmask_b32_e32 v3, 0, v50, vcc
	v_sub_u32_e32 v3, v3, v18
	v_cmp_ne_u32_e32 vcc, 0, v9
	v_lshl_add_u32 v15, v3, 6, v15
	s_and_b64 s[56:57], vcc, exec
.LBB4_342:                              ;   in Loop: Header=BB4_263 Depth=2
	s_or_b64 exec, exec, s[54:55]
	s_and_saveexec_b64 s[28:29], s[56:57]
	s_cbranch_execz .LBB4_352
.LBB4_343:                              ;   in Loop: Header=BB4_263 Depth=2
	v_ashrrev_i32_e32 v3, 31, v15
	v_ashrrev_i32_e32 v4, 31, v9
	v_lshrrev_b32_e32 v3, 26, v3
	v_lshrrev_b32_e32 v4, 23, v4
	v_add_u32_e32 v3, v15, v3
	v_add_u32_e32 v4, v9, v4
	v_ashrrev_i32_e32 v18, 6, v3
	v_ashrrev_i32_e32 v31, 9, v4
	v_sub_u32_e32 v19, v31, v18
	v_cmp_lt_i32_e32 vcc, 0, v19
	s_and_saveexec_b64 s[54:55], vcc
	s_cbranch_execz .LBB4_347
; %bb.344:                              ;   in Loop: Header=BB4_263 Depth=2
	s_trap 2
	ds_read_b64 v[4:5], v0
	v_and_b32_e32 v3, 0xffffffc0, v3
	v_sub_u32_e32 v3, v15, v3
	v_lshlrev_b32_e32 v14, 9, v18
	v_add3_u32 v14, v1, v3, v14
	v_ashrrev_i32_e32 v3, 31, v14
	s_mov_b64 s[56:57], 0
	s_waitcnt lgkmcnt(0)
	v_pk_mov_b32 v[16:17], v[4:5], v[4:5] op_sel:[0,1]
.LBB4_345:                              ;   Parent Loop BB4_83 Depth=1
                                        ;     Parent Loop BB4_263 Depth=2
                                        ; =>    This Inner Loop Header: Depth=3
	v_add_co_u32_e32 v54, vcc, v14, v16
	v_addc_co_u32_e32 v55, vcc, v3, v17, vcc
	flat_load_ubyte v48, v[54:55] glc slc
	flat_load_ubyte v56, v[54:55] offset:64 glc slc
	flat_load_ubyte v57, v[54:55] offset:128 glc slc
	;; [unrolled: 1-line block ×7, first 2 shown]
	v_add_co_u32_e32 v54, vcc, v14, v4
	v_addc_co_u32_e32 v55, vcc, v3, v5, vcc
	v_add_co_u32_e32 v16, vcc, v16, v40
	v_addc_co_u32_e32 v17, vcc, v17, v20, vcc
	v_add_co_u32_e32 v4, vcc, v4, v40
	v_sub_u32_e32 v19, v19, v50
	v_addc_co_u32_e32 v5, vcc, v5, v20, vcc
	v_cmp_gt_i32_e32 vcc, 1, v19
	s_or_b64 s[56:57], vcc, s[56:57]
	s_waitcnt vmcnt(0) lgkmcnt(0)
	flat_store_byte v[54:55], v48 glc slc
	flat_store_byte v[54:55], v56 offset:64 glc slc
	flat_store_byte v[54:55], v57 offset:128 glc slc
	;; [unrolled: 1-line block ×7, first 2 shown]
	s_andn2_b64 exec, exec, s[56:57]
	s_cbranch_execnz .LBB4_345
; %bb.346:                              ;   in Loop: Header=BB4_263 Depth=2
	s_or_b64 exec, exec, s[56:57]
	v_accvgpr_read_b32 v55, a21
	v_accvgpr_read_b32 v54, a20
.LBB4_347:                              ;   in Loop: Header=BB4_263 Depth=2
	s_or_b64 exec, exec, s[54:55]
	v_lshlrev_b32_e32 v3, 9, v31
	v_cmp_ne_u32_e32 vcc, v9, v3
	s_and_saveexec_b64 s[54:55], vcc
	s_cbranch_execz .LBB4_351
; %bb.348:                              ;   in Loop: Header=BB4_263 Depth=2
	v_lshlrev_b32_e32 v4, 6, v18
	v_sub_u32_e32 v4, v15, v4
	v_lshlrev_b32_e32 v5, 6, v19
	v_sub_u32_e32 v4, v4, v5
	v_add_u32_e32 v3, v3, v4
	v_sub_u32_e32 v9, v9, v3
	v_cmp_lt_i32_e32 vcc, 0, v9
	s_and_b64 exec, exec, vcc
	s_cbranch_execz .LBB4_351
; %bb.349:                              ;   in Loop: Header=BB4_263 Depth=2
	s_trap 2
	ds_read_b64 v[4:5], v0
	v_add_u32_e32 v14, v3, v1
	v_ashrrev_i32_e32 v3, 31, v14
	s_mov_b64 s[56:57], 0
.LBB4_350:                              ;   Parent Loop BB4_83 Depth=1
                                        ;     Parent Loop BB4_263 Depth=2
                                        ; =>    This Inner Loop Header: Depth=3
	s_waitcnt lgkmcnt(0)
	v_add_co_u32_e32 v16, vcc, v4, v14
	v_addc_co_u32_e32 v17, vcc, v5, v3, vcc
	flat_load_ubyte v1, v[16:17] glc slc
	v_add_co_u32_e32 v14, vcc, v14, v21
	v_sub_u32_e32 v9, v9, v25
	v_addc_co_u32_e32 v3, vcc, v3, v8, vcc
	v_cmp_gt_i32_e32 vcc, 1, v9
	s_or_b64 s[56:57], vcc, s[56:57]
	s_waitcnt vmcnt(0) lgkmcnt(0)
	flat_store_byte v[16:17], v1 glc slc
	s_andn2_b64 exec, exec, s[56:57]
	s_cbranch_execnz .LBB4_350
.LBB4_351:                              ;   in Loop: Header=BB4_263 Depth=2
	s_or_b64 exec, exec, s[54:55]
.LBB4_352:                              ;   in Loop: Header=BB4_263 Depth=2
	s_or_b64 exec, exec, s[28:29]
.LBB4_353:                              ;   in Loop: Header=BB4_263 Depth=2
	s_and_saveexec_b64 s[28:29], s[10:11]
	s_cbranch_execz .LBB4_372
; %bb.354:                              ;   in Loop: Header=BB4_263 Depth=2
	s_and_saveexec_b64 vcc, s[46:47]
	s_xor_b64 s[54:55], exec, vcc
	s_cbranch_execz .LBB4_369
; %bb.355:                              ;   in Loop: Header=BB4_263 Depth=2
	s_and_saveexec_b64 s[56:57], s[16:17]
	s_cbranch_execz .LBB4_368
; %bb.356:                              ;   in Loop: Header=BB4_263 Depth=2
	s_mov_b64 s[60:61], exec
	v_mbcnt_lo_u32_b32 v1, s60, 0
	v_mbcnt_hi_u32_b32 v1, s61, v1
	v_cmp_eq_u32_e32 vcc, 0, v1
	s_waitcnt vmcnt(0) lgkmcnt(0)
	buffer_wbinvl1_vol
	s_and_saveexec_b64 s[58:59], vcc
	s_cbranch_execz .LBB4_358
; %bb.357:                              ;   in Loop: Header=BB4_263 Depth=2
	s_bcnt1_i32_b64 vcc_lo, s[60:61]
	v_mov_b32_e32 v48, vcc_lo
	ds_add_u64 v0, v[48:49]
	s_trap 2
.LBB4_358:                              ;   in Loop: Header=BB4_263 Depth=2
	s_or_b64 exec, exec, s[58:59]
	s_trap 2
	ds_read_b64 v[4:5], v0
	v_add_co_u32_e32 v34, vcc, v34, v50
	v_addc_co_u32_e32 v35, vcc, 0, v35, vcc
	s_waitcnt lgkmcnt(0)
	v_cmp_lt_u64_e32 vcc, v[4:5], v[34:35]
	s_and_saveexec_b64 s[58:59], vcc
	s_cbranch_execz .LBB4_367
; %bb.359:                              ;   in Loop: Header=BB4_263 Depth=2
	s_mov_b32 s77, 0
	s_mov_b64 s[60:61], 0
                                        ; implicit-def: $sgpr62_sgpr63
                                        ; implicit-def: $sgpr64_sgpr65
	s_branch .LBB4_361
.LBB4_360:                              ;   in Loop: Header=BB4_361 Depth=3
	s_or_b64 exec, exec, s[68:69]
	s_and_b64 vcc, exec, vcc
	s_or_b64 s[60:61], vcc, s[60:61]
	s_andn2_b64 vcc, s[62:63], exec
	s_and_b64 s[62:63], s[64:65], exec
	s_or_b64 s[62:63], vcc, s[62:63]
	s_andn2_b64 exec, exec, s[60:61]
	s_cbranch_execz .LBB4_365
.LBB4_361:                              ;   Parent Loop BB4_83 Depth=1
                                        ;     Parent Loop BB4_263 Depth=2
                                        ; =>    This Inner Loop Header: Depth=3
	s_add_i32 s77, s77, 1
	s_cmpk_lg_i32 s77, 0x2710
	s_cselect_b64 s[66:67], -1, 0
	s_and_b64 vcc, exec, s[66:67]
                                        ; implicit-def: $sgpr68_sgpr69
	s_cbranch_vccnz .LBB4_363
; %bb.362:                              ;   in Loop: Header=BB4_361 Depth=3
	s_trap 2
	ds_read_b64 v[4:5], v0
	s_andn2_b64 s[66:67], s[66:67], exec
	s_mov_b32 s77, 0
	s_mov_b64 s[68:69], -1
	s_waitcnt lgkmcnt(0)
	flat_load_dword v1, v[4:5] glc
	s_waitcnt vmcnt(0) lgkmcnt(0)
	buffer_invl2
	buffer_wbinvl1_vol
	v_cmp_eq_u32_e32 vcc, 0, v1
	s_and_b64 vcc, vcc, exec
	s_or_b64 s[66:67], s[66:67], vcc
.LBB4_363:                              ;   in Loop: Header=BB4_361 Depth=3
	s_andn2_b64 s[64:65], s[64:65], exec
	s_and_b64 s[68:69], s[68:69], exec
	s_mov_b64 vcc, -1
	s_or_b64 s[64:65], s[64:65], s[68:69]
	s_and_saveexec_b64 s[68:69], s[66:67]
	s_cbranch_execz .LBB4_360
; %bb.364:                              ;   in Loop: Header=BB4_361 Depth=3
	s_sleep 1
	s_trap 2
	ds_read_b64 v[4:5], v0
	s_andn2_b64 s[64:65], s[64:65], exec
	s_waitcnt lgkmcnt(0)
	v_cmp_ge_u64_e32 vcc, v[4:5], v[34:35]
	s_orn2_b64 vcc, vcc, exec
	s_branch .LBB4_360
.LBB4_365:                              ;   in Loop: Header=BB4_263 Depth=2
	s_or_b64 exec, exec, s[60:61]
	s_and_saveexec_b64 vcc, s[62:63]
	s_xor_b64 vcc, exec, vcc
	s_cbranch_execz .LBB4_367
; %bb.366:                              ;   in Loop: Header=BB4_263 Depth=2
	ds_write_b32 v0, v46
	s_trap 2
.LBB4_367:                              ;   in Loop: Header=BB4_263 Depth=2
	s_or_b64 exec, exec, s[58:59]
	;;#ASMSTART
	s_wakeup
	;;#ASMEND
.LBB4_368:                              ;   in Loop: Header=BB4_263 Depth=2
	s_or_b64 exec, exec, s[56:57]
.LBB4_369:                              ;   in Loop: Header=BB4_263 Depth=2
	s_andn2_saveexec_b64 vcc, s[54:55]
	s_cbranch_execz .LBB4_371
; %bb.370:                              ;   in Loop: Header=BB4_263 Depth=2
	s_waitcnt vmcnt(0) lgkmcnt(0)
	buffer_wbinvl1_vol
	s_barrier
.LBB4_371:                              ;   in Loop: Header=BB4_263 Depth=2
	s_or_b64 exec, exec, vcc
.LBB4_372:                              ;   in Loop: Header=BB4_263 Depth=2
	s_or_b64 exec, exec, s[28:29]
	v_and_b32_e32 v3, 16, v62
	s_and_saveexec_b64 s[28:29], s[24:25]
	s_xor_b64 s[54:55], exec, s[28:29]
	s_cbranch_execz .LBB4_377
; %bb.373:                              ;   in Loop: Header=BB4_263 Depth=2
	v_and_b32_e32 v1, 16, v62
	v_cmp_lt_i32_e32 vcc, 0, v23
	v_cmp_ne_u32_e64 s[28:29], 0, v1
	v_and_b32_e32 v3, 16, v62
	s_and_b64 vcc, s[28:29], vcc
	s_and_saveexec_b64 s[28:29], vcc
	s_cbranch_execz .LBB4_375
; %bb.374:                              ;   in Loop: Header=BB4_263 Depth=2
	v_mov_b32_e32 v3, 1
	s_waitcnt vmcnt(0) lgkmcnt(0)
	buffer_wbinvl1_vol
.LBB4_375:                              ;   in Loop: Header=BB4_263 Depth=2
	s_or_b64 exec, exec, s[28:29]
	s_andn2_saveexec_b64 s[28:29], s[54:55]
	s_cbranch_execnz .LBB4_378
.LBB4_376:                              ;   in Loop: Header=BB4_263 Depth=2
	s_or_b64 exec, exec, s[28:29]
	v_cmp_ne_u32_e32 vcc, 0, v3
	s_and_saveexec_b64 s[28:29], vcc
	s_cbranch_execz .LBB4_262
	s_branch .LBB4_396
.LBB4_377:                              ;   in Loop: Header=BB4_263 Depth=2
	s_andn2_saveexec_b64 s[28:29], s[54:55]
	s_cbranch_execz .LBB4_376
.LBB4_378:                              ;   in Loop: Header=BB4_263 Depth=2
	s_and_saveexec_b64 vcc, s[46:47]
	s_xor_b64 s[54:55], exec, vcc
	s_cbranch_execz .LBB4_393
; %bb.379:                              ;   in Loop: Header=BB4_263 Depth=2
	s_and_saveexec_b64 s[56:57], s[16:17]
	s_cbranch_execz .LBB4_392
; %bb.380:                              ;   in Loop: Header=BB4_263 Depth=2
	s_mov_b64 s[60:61], exec
	v_mbcnt_lo_u32_b32 v1, s60, 0
	v_mbcnt_hi_u32_b32 v1, s61, v1
	v_cmp_eq_u32_e32 vcc, 0, v1
	;;#ASMSTART
	s_waitcnt lgkmcnt(0) vmcnt(0)
	;;#ASMEND
	s_and_saveexec_b64 s[58:59], vcc
	s_cbranch_execz .LBB4_382
; %bb.381:                              ;   in Loop: Header=BB4_263 Depth=2
	s_bcnt1_i32_b64 vcc_lo, s[60:61]
	v_mov_b32_e32 v48, vcc_lo
	ds_add_u64 v0, v[48:49]
	s_trap 2
.LBB4_382:                              ;   in Loop: Header=BB4_263 Depth=2
	s_or_b64 exec, exec, s[58:59]
	s_trap 2
	ds_read_b64 v[4:5], v0
	v_add_co_u32_e32 v34, vcc, v34, v50
	v_addc_co_u32_e32 v35, vcc, 0, v35, vcc
	s_waitcnt lgkmcnt(0)
	v_cmp_lt_u64_e32 vcc, v[4:5], v[34:35]
	s_and_saveexec_b64 s[58:59], vcc
	s_cbranch_execz .LBB4_391
; %bb.383:                              ;   in Loop: Header=BB4_263 Depth=2
	s_mov_b32 s77, 0
	s_mov_b64 s[60:61], 0
                                        ; implicit-def: $sgpr62_sgpr63
                                        ; implicit-def: $sgpr64_sgpr65
	s_branch .LBB4_385
.LBB4_384:                              ;   in Loop: Header=BB4_385 Depth=3
	s_or_b64 exec, exec, s[68:69]
	s_and_b64 vcc, exec, vcc
	s_or_b64 s[60:61], vcc, s[60:61]
	s_andn2_b64 vcc, s[62:63], exec
	s_and_b64 s[62:63], s[64:65], exec
	s_or_b64 s[62:63], vcc, s[62:63]
	s_andn2_b64 exec, exec, s[60:61]
	s_cbranch_execz .LBB4_389
.LBB4_385:                              ;   Parent Loop BB4_83 Depth=1
                                        ;     Parent Loop BB4_263 Depth=2
                                        ; =>    This Inner Loop Header: Depth=3
	s_add_i32 s77, s77, 1
	s_cmpk_lg_i32 s77, 0x2710
	s_cselect_b64 s[66:67], -1, 0
	s_and_b64 vcc, exec, s[66:67]
                                        ; implicit-def: $sgpr68_sgpr69
	s_cbranch_vccnz .LBB4_387
; %bb.386:                              ;   in Loop: Header=BB4_385 Depth=3
	s_trap 2
	ds_read_b64 v[4:5], v0
	s_andn2_b64 s[66:67], s[66:67], exec
	s_mov_b32 s77, 0
	s_mov_b64 s[68:69], -1
	s_waitcnt vmcnt(0) lgkmcnt(0)
	flat_load_dword v1, v[4:5] glc
	s_waitcnt vmcnt(0) lgkmcnt(0)
	buffer_invl2
	buffer_wbinvl1_vol
	v_cmp_eq_u32_e32 vcc, 0, v1
	s_and_b64 vcc, vcc, exec
	s_or_b64 s[66:67], s[66:67], vcc
.LBB4_387:                              ;   in Loop: Header=BB4_385 Depth=3
	s_andn2_b64 s[64:65], s[64:65], exec
	s_and_b64 s[68:69], s[68:69], exec
	s_mov_b64 vcc, -1
	s_or_b64 s[64:65], s[64:65], s[68:69]
	s_and_saveexec_b64 s[68:69], s[66:67]
	s_cbranch_execz .LBB4_384
; %bb.388:                              ;   in Loop: Header=BB4_385 Depth=3
	s_sleep 1
	s_trap 2
	ds_read_b64 v[4:5], v0
	s_andn2_b64 s[64:65], s[64:65], exec
	s_waitcnt lgkmcnt(0)
	v_cmp_ge_u64_e32 vcc, v[4:5], v[34:35]
	s_orn2_b64 vcc, vcc, exec
	s_branch .LBB4_384
.LBB4_389:                              ;   in Loop: Header=BB4_263 Depth=2
	s_or_b64 exec, exec, s[60:61]
	s_and_saveexec_b64 vcc, s[62:63]
	s_xor_b64 vcc, exec, vcc
	s_cbranch_execz .LBB4_391
; %bb.390:                              ;   in Loop: Header=BB4_263 Depth=2
	ds_write_b32 v0, v46
	s_trap 2
.LBB4_391:                              ;   in Loop: Header=BB4_263 Depth=2
	s_or_b64 exec, exec, s[58:59]
	;;#ASMSTART
	s_wakeup
	;;#ASMEND
.LBB4_392:                              ;   in Loop: Header=BB4_263 Depth=2
	s_or_b64 exec, exec, s[56:57]
.LBB4_393:                              ;   in Loop: Header=BB4_263 Depth=2
	s_andn2_saveexec_b64 vcc, s[54:55]
	s_cbranch_execz .LBB4_395
; %bb.394:                              ;   in Loop: Header=BB4_263 Depth=2
	;;#ASMSTART
	s_waitcnt lgkmcnt(0) vmcnt(0)
	;;#ASMEND
	s_barrier
.LBB4_395:                              ;   in Loop: Header=BB4_263 Depth=2
	s_or_b64 exec, exec, vcc
	s_or_b64 exec, exec, s[28:29]
	v_cmp_ne_u32_e32 vcc, 0, v3
	s_and_saveexec_b64 s[28:29], vcc
	s_cbranch_execz .LBB4_262
.LBB4_396:                              ;   in Loop: Header=BB4_263 Depth=2
	s_and_saveexec_b64 vcc, s[14:15]
	s_cbranch_execz .LBB4_261
; %bb.397:                              ;   in Loop: Header=BB4_263 Depth=2
	flat_store_dword v[36:37], v46
	s_branch .LBB4_261
.LBB4_398:                              ;   in Loop: Header=BB4_83 Depth=1
	s_or_b64 exec, exec, s[56:57]
.LBB4_399:                              ;   in Loop: Header=BB4_83 Depth=1
	s_or_b64 exec, exec, s[54:55]
	v_cmp_gt_i32_e32 vcc, 2, v1
	s_and_saveexec_b64 s[30:31], vcc
	s_cbranch_execz .LBB4_543
; %bb.400:                              ;   in Loop: Header=BB4_83 Depth=1
	v_cmp_eq_u32_e64 s[28:29], 0, v1
	s_mov_b64 s[34:35], 0
	s_branch .LBB4_403
.LBB4_401:                              ;   in Loop: Header=BB4_403 Depth=2
	s_or_b64 exec, exec, vcc
	v_add_co_u32_e32 v26, vcc, 2, v26
	v_addc_co_u32_e32 v27, vcc, 0, v27, vcc
	flat_store_dwordx2 v[28:29], v[26:27]
.LBB4_402:                              ;   in Loop: Header=BB4_403 Depth=2
	s_or_b64 exec, exec, s[28:29]
	v_add_u32_e32 v31, v58, v31
	s_mov_b64 s[28:29], 0
	s_andn2_b64 exec, exec, s[34:35]
	s_cbranch_execz .LBB4_542
.LBB4_403:                              ;   Parent Loop BB4_83 Depth=1
                                        ; =>  This Loop Header: Depth=2
                                        ;       Child Loop BB4_409 Depth 3
                                        ;       Child Loop BB4_433 Depth 3
	;; [unrolled: 1-line block ×3, first 2 shown]
	v_and_b32_e32 v1, 8, v62
	s_mov_b64 s[54:55], -1
	v_cmp_ne_u32_e32 vcc, 0, v1
	s_and_saveexec_b64 s[36:37], vcc
	s_cbranch_execz .LBB4_415
; %bb.404:                              ;   in Loop: Header=BB4_403 Depth=2
	v_add_co_u32_e32 v4, vcc, 8, v38
	v_addc_co_u32_e32 v5, vcc, 0, v39, vcc
	v_add_co_u32_e32 v2, vcc, 2, v26
	v_addc_co_u32_e32 v3, vcc, 0, v27, vcc
	v_cmp_lt_u64_e32 vcc, v[4:5], v[2:3]
	v_mov_b32_e32 v1, 1
	s_and_saveexec_b64 s[54:55], vcc
	s_cbranch_execz .LBB4_414
; %bb.405:                              ;   in Loop: Header=BB4_403 Depth=2
	s_mov_b64 s[56:57], 0
	v_mov_b32_e32 v1, 0
                                        ; implicit-def: $sgpr58_sgpr59
	s_branch .LBB4_409
.LBB4_406:                              ;   in Loop: Header=BB4_409 Depth=3
	s_or_b64 exec, exec, s[66:67]
	v_mov_b32_e32 v4, 0
	s_orn2_b64 s[64:65], s[64:65], exec
.LBB4_407:                              ;   in Loop: Header=BB4_409 Depth=3
	s_or_b64 exec, exec, s[62:63]
	s_andn2_b64 vcc, s[58:59], exec
	s_and_b64 s[58:59], s[64:65], exec
	s_or_b64 s[58:59], vcc, s[58:59]
	v_mov_b32_e32 v1, v4
.LBB4_408:                              ;   in Loop: Header=BB4_409 Depth=3
	s_or_b64 exec, exec, s[60:61]
	s_waitcnt vmcnt(0) lgkmcnt(0)
	v_add_co_u32_e32 v4, vcc, 8, v38
	v_addc_co_u32_e32 v5, vcc, 0, v39, vcc
	v_cmp_ge_u64_e32 vcc, v[4:5], v[2:3]
	s_xor_b64 s[60:61], s[58:59], -1
	s_or_b64 vcc, s[60:61], vcc
	s_and_b64 vcc, exec, vcc
	s_or_b64 s[56:57], vcc, s[56:57]
	s_andn2_b64 exec, exec, s[56:57]
	s_cbranch_execz .LBB4_413
.LBB4_409:                              ;   Parent Loop BB4_83 Depth=1
                                        ;     Parent Loop BB4_403 Depth=2
                                        ; =>    This Inner Loop Header: Depth=3
	s_sleep 1
	flat_load_dwordx2 v[38:39], v[28:29] glc
	v_and_b32_e32 v4, 64, v62
	v_cmp_eq_u32_e32 vcc, 0, v4
	s_andn2_b64 s[58:59], s[58:59], exec
	s_and_saveexec_b64 s[60:61], vcc
	s_cbranch_execz .LBB4_408
; %bb.410:                              ;   in Loop: Header=BB4_409 Depth=3
	v_add_u32_e32 v4, 1, v1
	v_cmp_lt_i32_e32 vcc, s72, v1
	s_mov_b64 s[64:65], -1
	s_and_saveexec_b64 s[62:63], vcc
	s_cbranch_execz .LBB4_407
; %bb.411:                              ;   in Loop: Header=BB4_409 Depth=3
	s_trap 2
	ds_read_b64 v[4:5], v0
	s_waitcnt vmcnt(0) lgkmcnt(0)
	flat_load_dword v1, v[4:5] glc
	s_waitcnt vmcnt(0) lgkmcnt(0)
	buffer_invl2
	buffer_wbinvl1_vol
	v_cmp_ne_u32_e32 vcc, 0, v1
	s_and_saveexec_b64 s[66:67], vcc
	s_cbranch_execz .LBB4_406
; %bb.412:                              ;   in Loop: Header=BB4_409 Depth=3
	v_or_b32_e32 v62, 64, v62
	s_xor_b64 s[64:65], exec, -1
	ds_write_b32 v0, v1
	s_trap 2
	s_branch .LBB4_406
.LBB4_413:                              ;   in Loop: Header=BB4_403 Depth=2
	s_or_b64 exec, exec, s[56:57]
	v_and_b32_e32 v1, 8, v62
.LBB4_414:                              ;   in Loop: Header=BB4_403 Depth=2
	s_or_b64 exec, exec, s[54:55]
	v_cmp_eq_u32_e32 vcc, 0, v1
	s_orn2_b64 s[54:55], vcc, exec
	;;#ASMSTART
	s_wakeup
	;;#ASMEND
.LBB4_415:                              ;   in Loop: Header=BB4_403 Depth=2
	s_or_b64 exec, exec, s[36:37]
	s_xor_b64 s[28:29], s[28:29], -1
	s_and_b64 s[28:29], exec, s[28:29]
	s_or_b64 s[34:35], s[28:29], s[34:35]
	v_sub_u32_e32 v1, v7, v31
	s_xor_b64 s[28:29], s[54:55], -1
	v_min_i32_e32 v58, v58, v1
	s_and_saveexec_b64 s[36:37], s[28:29]
	s_cbranch_execz .LBB4_425
; %bb.416:                              ;   in Loop: Header=BB4_403 Depth=2
	v_and_b32_e32 v1, 0x100, v62
	v_cmp_ne_u32_e32 vcc, 0, v1
	v_and_b32_e32 v1, 7, v26
	s_mov_b64 s[28:29], -1
                                        ; implicit-def: $vgpr2_vgpr3
	s_and_saveexec_b64 s[54:55], vcc
	s_cbranch_execz .LBB4_420
; %bb.417:                              ;   in Loop: Header=BB4_403 Depth=2
	v_mad_u64_u32 v[4:5], s[28:29], v1, 24, v[12:13]
	flat_load_dword v2, v[4:5]
	v_ashrrev_i32_e32 v59, 31, v58
	flat_store_dwordx2 v[4:5], v[58:59] offset:8
	s_waitcnt vmcnt(0) lgkmcnt(0)
	v_cmp_ne_u32_e32 vcc, 1, v2
	v_cmp_eq_u32_e64 s[28:29], 1, v2
                                        ; implicit-def: $vgpr2_vgpr3
	s_and_saveexec_b64 s[56:57], s[28:29]
	s_cbranch_execz .LBB4_419
; %bb.418:                              ;   in Loop: Header=BB4_403 Depth=2
	flat_load_dword v2, v[4:5] offset:4 glc
	s_waitcnt vmcnt(0) lgkmcnt(0)
	v_ashrrev_i32_e32 v3, 31, v2
.LBB4_419:                              ;   in Loop: Header=BB4_403 Depth=2
	s_or_b64 exec, exec, s[56:57]
	s_orn2_b64 s[28:29], vcc, exec
.LBB4_420:                              ;   in Loop: Header=BB4_403 Depth=2
	s_or_b64 exec, exec, s[54:55]
	s_and_saveexec_b64 vcc, s[28:29]
; %bb.421:                              ;   in Loop: Header=BB4_403 Depth=2
	v_mad_i64_i32 v[2:3], s[28:29], v1, v30, 0
; %bb.422:                              ;   in Loop: Header=BB4_403 Depth=2
	s_or_b64 exec, exec, vcc
	v_add_co_u32_e32 v2, vcc, v32, v2
	v_addc_co_u32_e32 v3, vcc, v33, v3, vcc
	v_and_b32_e32 v1, 0x2000, v62
	v_cmp_ne_u32_e32 vcc, 0, v1
	ds_write_b64 v0, v[2:3] offset:792
	s_and_saveexec_b64 s[28:29], vcc
	s_cbranch_execz .LBB4_424
; %bb.423:                              ;   in Loop: Header=BB4_403 Depth=2
	ds_read_b64 v[2:3], v0 offset:584
	s_waitcnt lgkmcnt(0)
	v_add_co_u32_e32 v2, vcc, 1, v2
	v_addc_co_u32_e32 v3, vcc, 0, v3, vcc
	ds_write_b64 v0, v[2:3] offset:584
.LBB4_424:                              ;   in Loop: Header=BB4_403 Depth=2
	s_or_b64 exec, exec, s[28:29]
	v_add_co_u32_e32 v26, vcc, 2, v26
	v_addc_co_u32_e32 v27, vcc, 0, v27, vcc
.LBB4_425:                              ;   in Loop: Header=BB4_403 Depth=2
	s_or_b64 exec, exec, s[36:37]
	s_and_saveexec_b64 s[28:29], s[10:11]
	s_cbranch_execz .LBB4_444
; %bb.426:                              ;   in Loop: Header=BB4_403 Depth=2
	s_and_saveexec_b64 vcc, s[46:47]
	s_xor_b64 s[36:37], exec, vcc
	s_cbranch_execz .LBB4_441
; %bb.427:                              ;   in Loop: Header=BB4_403 Depth=2
	s_and_saveexec_b64 s[54:55], s[16:17]
	s_cbranch_execz .LBB4_440
; %bb.428:                              ;   in Loop: Header=BB4_403 Depth=2
	s_mov_b64 s[58:59], exec
	v_mbcnt_lo_u32_b32 v1, s58, 0
	v_mbcnt_hi_u32_b32 v1, s59, v1
	v_cmp_eq_u32_e32 vcc, 0, v1
	s_waitcnt vmcnt(0) lgkmcnt(0)
	buffer_wbinvl1_vol
	s_and_saveexec_b64 s[56:57], vcc
	s_cbranch_execz .LBB4_430
; %bb.429:                              ;   in Loop: Header=BB4_403 Depth=2
	s_bcnt1_i32_b64 vcc_lo, s[58:59]
	v_mov_b32_e32 v48, vcc_lo
	ds_add_u64 v0, v[48:49]
	s_trap 2
.LBB4_430:                              ;   in Loop: Header=BB4_403 Depth=2
	s_or_b64 exec, exec, s[56:57]
	s_trap 2
	ds_read_b64 v[2:3], v0
	v_add_co_u32_e32 v34, vcc, v34, v50
	v_addc_co_u32_e32 v35, vcc, 0, v35, vcc
	s_waitcnt lgkmcnt(0)
	v_cmp_lt_u64_e32 vcc, v[2:3], v[34:35]
	s_and_saveexec_b64 s[56:57], vcc
	s_cbranch_execz .LBB4_439
; %bb.431:                              ;   in Loop: Header=BB4_403 Depth=2
	s_mov_b32 s68, 0
	s_mov_b64 s[58:59], 0
                                        ; implicit-def: $sgpr60_sgpr61
                                        ; implicit-def: $sgpr62_sgpr63
	s_branch .LBB4_433
.LBB4_432:                              ;   in Loop: Header=BB4_433 Depth=3
	s_or_b64 exec, exec, s[66:67]
	s_and_b64 vcc, exec, vcc
	s_or_b64 s[58:59], vcc, s[58:59]
	s_andn2_b64 vcc, s[60:61], exec
	s_and_b64 s[60:61], s[62:63], exec
	s_or_b64 s[60:61], vcc, s[60:61]
	s_andn2_b64 exec, exec, s[58:59]
	s_cbranch_execz .LBB4_437
.LBB4_433:                              ;   Parent Loop BB4_83 Depth=1
                                        ;     Parent Loop BB4_403 Depth=2
                                        ; =>    This Inner Loop Header: Depth=3
	s_add_i32 s68, s68, 1
	s_cmpk_lg_i32 s68, 0x2710
	s_cselect_b64 s[64:65], -1, 0
	s_and_b64 vcc, exec, s[64:65]
                                        ; implicit-def: $sgpr66_sgpr67
	s_cbranch_vccnz .LBB4_435
; %bb.434:                              ;   in Loop: Header=BB4_433 Depth=3
	s_trap 2
	ds_read_b64 v[2:3], v0
	s_andn2_b64 s[64:65], s[64:65], exec
	s_mov_b32 s68, 0
	s_mov_b64 s[66:67], -1
	s_waitcnt lgkmcnt(0)
	flat_load_dword v1, v[2:3] glc
	s_waitcnt vmcnt(0) lgkmcnt(0)
	buffer_invl2
	buffer_wbinvl1_vol
	v_cmp_eq_u32_e32 vcc, 0, v1
	s_and_b64 vcc, vcc, exec
	s_or_b64 s[64:65], s[64:65], vcc
.LBB4_435:                              ;   in Loop: Header=BB4_433 Depth=3
	s_andn2_b64 s[62:63], s[62:63], exec
	s_and_b64 s[66:67], s[66:67], exec
	s_mov_b64 vcc, -1
	s_or_b64 s[62:63], s[62:63], s[66:67]
	s_and_saveexec_b64 s[66:67], s[64:65]
	s_cbranch_execz .LBB4_432
; %bb.436:                              ;   in Loop: Header=BB4_433 Depth=3
	s_sleep 1
	s_trap 2
	ds_read_b64 v[2:3], v0
	s_andn2_b64 s[62:63], s[62:63], exec
	s_waitcnt lgkmcnt(0)
	v_cmp_ge_u64_e32 vcc, v[2:3], v[34:35]
	s_orn2_b64 vcc, vcc, exec
	s_branch .LBB4_432
.LBB4_437:                              ;   in Loop: Header=BB4_403 Depth=2
	s_or_b64 exec, exec, s[58:59]
	s_and_saveexec_b64 vcc, s[60:61]
	s_xor_b64 vcc, exec, vcc
	s_cbranch_execz .LBB4_439
; %bb.438:                              ;   in Loop: Header=BB4_403 Depth=2
	ds_write_b32 v0, v46
	s_trap 2
.LBB4_439:                              ;   in Loop: Header=BB4_403 Depth=2
	s_or_b64 exec, exec, s[56:57]
	;;#ASMSTART
	s_wakeup
	;;#ASMEND
.LBB4_440:                              ;   in Loop: Header=BB4_403 Depth=2
	s_or_b64 exec, exec, s[54:55]
.LBB4_441:                              ;   in Loop: Header=BB4_403 Depth=2
	s_andn2_saveexec_b64 vcc, s[36:37]
	s_cbranch_execz .LBB4_443
; %bb.442:                              ;   in Loop: Header=BB4_403 Depth=2
	s_waitcnt vmcnt(0) lgkmcnt(0)
	buffer_wbinvl1_vol
	s_barrier
.LBB4_443:                              ;   in Loop: Header=BB4_403 Depth=2
	s_or_b64 exec, exec, vcc
.LBB4_444:                              ;   in Loop: Header=BB4_403 Depth=2
	s_or_b64 exec, exec, s[28:29]
	v_and_b32_e32 v2, 16, v62
	s_and_saveexec_b64 s[28:29], s[24:25]
	s_xor_b64 s[28:29], exec, s[28:29]
	s_cbranch_execz .LBB4_449
; %bb.445:                              ;   in Loop: Header=BB4_403 Depth=2
	s_trap 2
	ds_read_b32 v1, v0
	v_cmp_lt_i32_e32 vcc, 0, v58
	v_and_b32_e32 v3, 16, v62
	v_and_b32_e32 v2, 16, v62
	s_waitcnt lgkmcnt(0)
	v_readfirstlane_b32 s36, v1
	s_cmp_eq_u32 s36, 0
	s_cselect_b64 s[36:37], -1, 0
	s_and_b64 s[36:37], vcc, s[36:37]
	v_cmp_ne_u32_e32 vcc, 0, v3
	s_and_b64 s[36:37], vcc, s[36:37]
	s_and_saveexec_b64 vcc, s[36:37]
	s_cbranch_execz .LBB4_447
; %bb.446:                              ;   in Loop: Header=BB4_403 Depth=2
	v_mov_b32_e32 v2, 1
	s_waitcnt vmcnt(0)
	buffer_wbinvl1_vol
.LBB4_447:                              ;   in Loop: Header=BB4_403 Depth=2
	s_or_b64 exec, exec, vcc
	s_andn2_saveexec_b64 s[28:29], s[28:29]
	s_cbranch_execnz .LBB4_450
.LBB4_448:                              ;   in Loop: Header=BB4_403 Depth=2
	s_or_b64 exec, exec, s[28:29]
	v_cmp_ne_u32_e32 vcc, 0, v2
	s_and_saveexec_b64 s[28:29], vcc
	s_cbranch_execz .LBB4_402
	s_branch .LBB4_468
.LBB4_449:                              ;   in Loop: Header=BB4_403 Depth=2
	s_andn2_saveexec_b64 s[28:29], s[28:29]
	s_cbranch_execz .LBB4_448
.LBB4_450:                              ;   in Loop: Header=BB4_403 Depth=2
	s_and_saveexec_b64 vcc, s[46:47]
	s_xor_b64 s[36:37], exec, vcc
	s_cbranch_execz .LBB4_465
; %bb.451:                              ;   in Loop: Header=BB4_403 Depth=2
	s_and_saveexec_b64 s[54:55], s[16:17]
	s_cbranch_execz .LBB4_464
; %bb.452:                              ;   in Loop: Header=BB4_403 Depth=2
	s_mov_b64 s[58:59], exec
	v_mbcnt_lo_u32_b32 v1, s58, 0
	v_mbcnt_hi_u32_b32 v1, s59, v1
	v_cmp_eq_u32_e32 vcc, 0, v1
	;;#ASMSTART
	s_waitcnt lgkmcnt(0) vmcnt(0)
	;;#ASMEND
	s_and_saveexec_b64 s[56:57], vcc
	s_cbranch_execz .LBB4_454
; %bb.453:                              ;   in Loop: Header=BB4_403 Depth=2
	s_bcnt1_i32_b64 vcc_lo, s[58:59]
	v_mov_b32_e32 v48, vcc_lo
	ds_add_u64 v0, v[48:49]
	s_trap 2
.LBB4_454:                              ;   in Loop: Header=BB4_403 Depth=2
	s_or_b64 exec, exec, s[56:57]
	s_trap 2
	ds_read_b64 v[4:5], v0
	v_add_co_u32_e32 v34, vcc, v34, v50
	v_addc_co_u32_e32 v35, vcc, 0, v35, vcc
	s_waitcnt lgkmcnt(0)
	v_cmp_lt_u64_e32 vcc, v[4:5], v[34:35]
	s_and_saveexec_b64 s[56:57], vcc
	s_cbranch_execz .LBB4_463
; %bb.455:                              ;   in Loop: Header=BB4_403 Depth=2
	s_mov_b32 s68, 0
	s_mov_b64 s[58:59], 0
                                        ; implicit-def: $sgpr60_sgpr61
                                        ; implicit-def: $sgpr62_sgpr63
	s_branch .LBB4_457
.LBB4_456:                              ;   in Loop: Header=BB4_457 Depth=3
	s_or_b64 exec, exec, s[66:67]
	s_and_b64 vcc, exec, vcc
	s_or_b64 s[58:59], vcc, s[58:59]
	s_andn2_b64 vcc, s[60:61], exec
	s_and_b64 s[60:61], s[62:63], exec
	s_or_b64 s[60:61], vcc, s[60:61]
	s_andn2_b64 exec, exec, s[58:59]
	s_cbranch_execz .LBB4_461
.LBB4_457:                              ;   Parent Loop BB4_83 Depth=1
                                        ;     Parent Loop BB4_403 Depth=2
                                        ; =>    This Inner Loop Header: Depth=3
	s_add_i32 s68, s68, 1
	s_cmpk_lg_i32 s68, 0x2710
	s_cselect_b64 s[64:65], -1, 0
	s_and_b64 vcc, exec, s[64:65]
                                        ; implicit-def: $sgpr66_sgpr67
	s_cbranch_vccnz .LBB4_459
; %bb.458:                              ;   in Loop: Header=BB4_457 Depth=3
	s_trap 2
	ds_read_b64 v[4:5], v0
	s_andn2_b64 s[64:65], s[64:65], exec
	s_mov_b32 s68, 0
	s_mov_b64 s[66:67], -1
	s_waitcnt vmcnt(0) lgkmcnt(0)
	flat_load_dword v1, v[4:5] glc
	s_waitcnt vmcnt(0) lgkmcnt(0)
	buffer_invl2
	buffer_wbinvl1_vol
	v_cmp_eq_u32_e32 vcc, 0, v1
	s_and_b64 vcc, vcc, exec
	s_or_b64 s[64:65], s[64:65], vcc
.LBB4_459:                              ;   in Loop: Header=BB4_457 Depth=3
	s_andn2_b64 s[62:63], s[62:63], exec
	s_and_b64 s[66:67], s[66:67], exec
	s_mov_b64 vcc, -1
	s_or_b64 s[62:63], s[62:63], s[66:67]
	s_and_saveexec_b64 s[66:67], s[64:65]
	s_cbranch_execz .LBB4_456
; %bb.460:                              ;   in Loop: Header=BB4_457 Depth=3
	s_sleep 1
	s_trap 2
	ds_read_b64 v[4:5], v0
	s_andn2_b64 s[62:63], s[62:63], exec
	s_waitcnt lgkmcnt(0)
	v_cmp_ge_u64_e32 vcc, v[4:5], v[34:35]
	s_orn2_b64 vcc, vcc, exec
	s_branch .LBB4_456
.LBB4_461:                              ;   in Loop: Header=BB4_403 Depth=2
	s_or_b64 exec, exec, s[58:59]
	s_and_saveexec_b64 vcc, s[60:61]
	s_xor_b64 vcc, exec, vcc
	s_cbranch_execz .LBB4_463
; %bb.462:                              ;   in Loop: Header=BB4_403 Depth=2
	ds_write_b32 v0, v46
	s_trap 2
.LBB4_463:                              ;   in Loop: Header=BB4_403 Depth=2
	s_or_b64 exec, exec, s[56:57]
	;;#ASMSTART
	s_wakeup
	;;#ASMEND
.LBB4_464:                              ;   in Loop: Header=BB4_403 Depth=2
	s_or_b64 exec, exec, s[54:55]
.LBB4_465:                              ;   in Loop: Header=BB4_403 Depth=2
	s_andn2_saveexec_b64 vcc, s[36:37]
	s_cbranch_execz .LBB4_467
; %bb.466:                              ;   in Loop: Header=BB4_403 Depth=2
	;;#ASMSTART
	s_waitcnt lgkmcnt(0) vmcnt(0)
	;;#ASMEND
	s_barrier
.LBB4_467:                              ;   in Loop: Header=BB4_403 Depth=2
	s_or_b64 exec, exec, vcc
	s_or_b64 exec, exec, s[28:29]
	v_cmp_ne_u32_e32 vcc, 0, v2
	s_and_saveexec_b64 s[28:29], vcc
	s_cbranch_execz .LBB4_402
.LBB4_468:                              ;   in Loop: Header=BB4_403 Depth=2
	s_and_saveexec_b64 vcc, s[14:15]
	s_cbranch_execz .LBB4_401
; %bb.469:                              ;   in Loop: Header=BB4_403 Depth=2
	flat_store_dword v[36:37], v46
	s_branch .LBB4_401
.LBB4_470:                              ;   in Loop: Header=BB4_83 Depth=1
	s_or_b64 exec, exec, s[36:37]
.LBB4_471:                              ;   in Loop: Header=BB4_83 Depth=1
	s_or_b64 exec, exec, s[34:35]
	v_cmp_gt_i32_e32 vcc, 2, v1
	s_and_saveexec_b64 s[34:35], vcc
	s_cbranch_execz .LBB4_802
; %bb.472:                              ;   in Loop: Header=BB4_83 Depth=1
	v_cmp_eq_u32_e64 s[28:29], 0, v1
	s_mov_b64 s[36:37], 0
	s_branch .LBB4_475
.LBB4_473:                              ;   in Loop: Header=BB4_475 Depth=2
	s_or_b64 exec, exec, vcc
	v_add_co_u32_e32 v26, vcc, 2, v26
	v_addc_co_u32_e32 v27, vcc, 0, v27, vcc
	flat_store_dwordx2 v[28:29], v[26:27]
.LBB4_474:                              ;   in Loop: Header=BB4_475 Depth=2
	s_or_b64 exec, exec, s[28:29]
	v_add_u32_e32 v22, v2, v22
	s_mov_b64 s[28:29], 0
	s_andn2_b64 exec, exec, s[36:37]
	s_cbranch_execz .LBB4_801
.LBB4_475:                              ;   Parent Loop BB4_83 Depth=1
                                        ; =>  This Loop Header: Depth=2
                                        ;       Child Loop BB4_481 Depth 3
                                        ;       Child Loop BB4_505 Depth 3
	;; [unrolled: 1-line block ×3, first 2 shown]
	v_and_b32_e32 v1, 8, v62
	s_mov_b64 s[54:55], -1
	v_cmp_ne_u32_e32 vcc, 0, v1
	s_and_saveexec_b64 s[52:53], vcc
	s_cbranch_execz .LBB4_487
; %bb.476:                              ;   in Loop: Header=BB4_475 Depth=2
	v_add_co_u32_e32 v14, vcc, 8, v38
	v_addc_co_u32_e32 v15, vcc, 0, v39, vcc
	v_add_co_u32_e32 v4, vcc, 2, v26
	v_addc_co_u32_e32 v5, vcc, 0, v27, vcc
	v_cmp_lt_u64_e32 vcc, v[14:15], v[4:5]
	v_mov_b32_e32 v1, 1
	s_and_saveexec_b64 s[54:55], vcc
	s_cbranch_execz .LBB4_486
; %bb.477:                              ;   in Loop: Header=BB4_475 Depth=2
	s_mov_b64 s[56:57], 0
	v_mov_b32_e32 v1, 0
                                        ; implicit-def: $sgpr58_sgpr59
	s_branch .LBB4_481
.LBB4_478:                              ;   in Loop: Header=BB4_481 Depth=3
	s_or_b64 exec, exec, s[66:67]
	v_mov_b32_e32 v3, 0
	s_orn2_b64 s[64:65], s[64:65], exec
.LBB4_479:                              ;   in Loop: Header=BB4_481 Depth=3
	s_or_b64 exec, exec, s[62:63]
	s_andn2_b64 vcc, s[58:59], exec
	s_and_b64 s[58:59], s[64:65], exec
	s_or_b64 s[58:59], vcc, s[58:59]
	v_mov_b32_e32 v1, v3
.LBB4_480:                              ;   in Loop: Header=BB4_481 Depth=3
	s_or_b64 exec, exec, s[60:61]
	s_waitcnt vmcnt(0) lgkmcnt(0)
	v_add_co_u32_e32 v14, vcc, 8, v38
	v_addc_co_u32_e32 v15, vcc, 0, v39, vcc
	v_cmp_ge_u64_e32 vcc, v[14:15], v[4:5]
	s_xor_b64 s[60:61], s[58:59], -1
	s_or_b64 vcc, s[60:61], vcc
	s_and_b64 vcc, exec, vcc
	s_or_b64 s[56:57], vcc, s[56:57]
	s_andn2_b64 exec, exec, s[56:57]
	s_cbranch_execz .LBB4_485
.LBB4_481:                              ;   Parent Loop BB4_83 Depth=1
                                        ;     Parent Loop BB4_475 Depth=2
                                        ; =>    This Inner Loop Header: Depth=3
	s_sleep 1
	flat_load_dwordx2 v[38:39], v[28:29] glc
	v_and_b32_e32 v3, 64, v62
	v_cmp_eq_u32_e32 vcc, 0, v3
	s_andn2_b64 s[58:59], s[58:59], exec
	s_and_saveexec_b64 s[60:61], vcc
	s_cbranch_execz .LBB4_480
; %bb.482:                              ;   in Loop: Header=BB4_481 Depth=3
	v_add_u32_e32 v3, 1, v1
	v_cmp_lt_i32_e32 vcc, s72, v1
	s_mov_b64 s[64:65], -1
	s_and_saveexec_b64 s[62:63], vcc
	s_cbranch_execz .LBB4_479
; %bb.483:                              ;   in Loop: Header=BB4_481 Depth=3
	s_trap 2
	ds_read_b64 v[14:15], v0
	s_waitcnt vmcnt(0) lgkmcnt(0)
	flat_load_dword v1, v[14:15] glc
	s_waitcnt vmcnt(0) lgkmcnt(0)
	buffer_invl2
	buffer_wbinvl1_vol
	v_cmp_ne_u32_e32 vcc, 0, v1
	s_and_saveexec_b64 s[66:67], vcc
	s_cbranch_execz .LBB4_478
; %bb.484:                              ;   in Loop: Header=BB4_481 Depth=3
	v_or_b32_e32 v62, 64, v62
	s_xor_b64 s[64:65], exec, -1
	ds_write_b32 v0, v1
	s_trap 2
	s_branch .LBB4_478
.LBB4_485:                              ;   in Loop: Header=BB4_475 Depth=2
	s_or_b64 exec, exec, s[56:57]
	v_and_b32_e32 v1, 8, v62
.LBB4_486:                              ;   in Loop: Header=BB4_475 Depth=2
	s_or_b64 exec, exec, s[54:55]
	v_cmp_eq_u32_e32 vcc, 0, v1
	s_orn2_b64 s[54:55], vcc, exec
	;;#ASMSTART
	s_wakeup
	;;#ASMEND
.LBB4_487:                              ;   in Loop: Header=BB4_475 Depth=2
	s_or_b64 exec, exec, s[52:53]
	s_xor_b64 s[28:29], s[28:29], -1
	s_and_b64 s[28:29], exec, s[28:29]
	s_or_b64 s[36:37], s[28:29], s[36:37]
	v_sub_u32_e32 v1, v7, v22
	s_xor_b64 s[28:29], s[54:55], -1
	v_min_i32_e32 v2, v2, v1
	s_and_saveexec_b64 s[52:53], s[28:29]
	s_cbranch_execz .LBB4_497
; %bb.488:                              ;   in Loop: Header=BB4_475 Depth=2
	v_and_b32_e32 v1, 0x100, v62
	v_cmp_ne_u32_e32 vcc, 0, v1
	v_and_b32_e32 v1, 7, v26
	s_mov_b64 s[28:29], -1
                                        ; implicit-def: $vgpr4_vgpr5
	s_and_saveexec_b64 s[54:55], vcc
	s_cbranch_execz .LBB4_492
; %bb.489:                              ;   in Loop: Header=BB4_475 Depth=2
	v_mad_u64_u32 v[14:15], s[28:29], v1, 24, v[12:13]
	flat_load_dword v4, v[14:15]
	v_ashrrev_i32_e32 v3, 31, v2
	flat_store_dwordx2 v[14:15], v[2:3] offset:8
	s_waitcnt vmcnt(0) lgkmcnt(0)
	v_cmp_ne_u32_e32 vcc, 1, v4
	v_cmp_eq_u32_e64 s[28:29], 1, v4
                                        ; implicit-def: $vgpr4_vgpr5
	s_and_saveexec_b64 s[56:57], s[28:29]
	s_cbranch_execz .LBB4_491
; %bb.490:                              ;   in Loop: Header=BB4_475 Depth=2
	flat_load_dword v4, v[14:15] offset:4 glc
	s_waitcnt vmcnt(0) lgkmcnt(0)
	v_ashrrev_i32_e32 v5, 31, v4
.LBB4_491:                              ;   in Loop: Header=BB4_475 Depth=2
	s_or_b64 exec, exec, s[56:57]
	s_orn2_b64 s[28:29], vcc, exec
.LBB4_492:                              ;   in Loop: Header=BB4_475 Depth=2
	s_or_b64 exec, exec, s[54:55]
	s_and_saveexec_b64 vcc, s[28:29]
; %bb.493:                              ;   in Loop: Header=BB4_475 Depth=2
	v_mad_i64_i32 v[4:5], s[28:29], v1, v30, 0
; %bb.494:                              ;   in Loop: Header=BB4_475 Depth=2
	s_or_b64 exec, exec, vcc
	v_add_co_u32_e32 v4, vcc, v32, v4
	v_addc_co_u32_e32 v5, vcc, v33, v5, vcc
	v_and_b32_e32 v1, 0x2000, v62
	v_cmp_ne_u32_e32 vcc, 0, v1
	ds_write_b64 v0, v[4:5] offset:784
	s_and_saveexec_b64 s[28:29], vcc
	s_cbranch_execz .LBB4_496
; %bb.495:                              ;   in Loop: Header=BB4_475 Depth=2
	ds_read_b64 v[4:5], v0 offset:584
	s_waitcnt lgkmcnt(0)
	v_add_co_u32_e32 v4, vcc, 1, v4
	v_addc_co_u32_e32 v5, vcc, 0, v5, vcc
	ds_write_b64 v0, v[4:5] offset:584
.LBB4_496:                              ;   in Loop: Header=BB4_475 Depth=2
	s_or_b64 exec, exec, s[28:29]
	v_add_co_u32_e32 v26, vcc, 2, v26
	v_addc_co_u32_e32 v27, vcc, 0, v27, vcc
.LBB4_497:                              ;   in Loop: Header=BB4_475 Depth=2
	s_or_b64 exec, exec, s[52:53]
	s_and_saveexec_b64 s[28:29], s[10:11]
	s_cbranch_execz .LBB4_516
; %bb.498:                              ;   in Loop: Header=BB4_475 Depth=2
	s_and_saveexec_b64 vcc, s[46:47]
	s_xor_b64 s[52:53], exec, vcc
	s_cbranch_execz .LBB4_513
; %bb.499:                              ;   in Loop: Header=BB4_475 Depth=2
	s_and_saveexec_b64 s[54:55], s[16:17]
	s_cbranch_execz .LBB4_512
; %bb.500:                              ;   in Loop: Header=BB4_475 Depth=2
	s_mov_b64 s[58:59], exec
	v_mbcnt_lo_u32_b32 v1, s58, 0
	v_mbcnt_hi_u32_b32 v1, s59, v1
	v_cmp_eq_u32_e32 vcc, 0, v1
	s_waitcnt vmcnt(0) lgkmcnt(0)
	buffer_wbinvl1_vol
	s_and_saveexec_b64 s[56:57], vcc
	s_cbranch_execz .LBB4_502
; %bb.501:                              ;   in Loop: Header=BB4_475 Depth=2
	s_bcnt1_i32_b64 vcc_lo, s[58:59]
	v_mov_b32_e32 v48, vcc_lo
	ds_add_u64 v0, v[48:49]
	s_trap 2
.LBB4_502:                              ;   in Loop: Header=BB4_475 Depth=2
	s_or_b64 exec, exec, s[56:57]
	s_trap 2
	ds_read_b64 v[4:5], v0
	v_add_co_u32_e32 v34, vcc, v34, v50
	v_addc_co_u32_e32 v35, vcc, 0, v35, vcc
	s_waitcnt lgkmcnt(0)
	v_cmp_lt_u64_e32 vcc, v[4:5], v[34:35]
	s_and_saveexec_b64 s[56:57], vcc
	s_cbranch_execz .LBB4_511
; %bb.503:                              ;   in Loop: Header=BB4_475 Depth=2
	s_mov_b32 s68, 0
	s_mov_b64 s[58:59], 0
                                        ; implicit-def: $sgpr60_sgpr61
                                        ; implicit-def: $sgpr62_sgpr63
	s_branch .LBB4_505
.LBB4_504:                              ;   in Loop: Header=BB4_505 Depth=3
	s_or_b64 exec, exec, s[66:67]
	s_and_b64 vcc, exec, vcc
	s_or_b64 s[58:59], vcc, s[58:59]
	s_andn2_b64 vcc, s[60:61], exec
	s_and_b64 s[60:61], s[62:63], exec
	s_or_b64 s[60:61], vcc, s[60:61]
	s_andn2_b64 exec, exec, s[58:59]
	s_cbranch_execz .LBB4_509
.LBB4_505:                              ;   Parent Loop BB4_83 Depth=1
                                        ;     Parent Loop BB4_475 Depth=2
                                        ; =>    This Inner Loop Header: Depth=3
	s_add_i32 s68, s68, 1
	s_cmpk_lg_i32 s68, 0x2710
	s_cselect_b64 s[64:65], -1, 0
	s_and_b64 vcc, exec, s[64:65]
                                        ; implicit-def: $sgpr66_sgpr67
	s_cbranch_vccnz .LBB4_507
; %bb.506:                              ;   in Loop: Header=BB4_505 Depth=3
	s_trap 2
	ds_read_b64 v[4:5], v0
	s_andn2_b64 s[64:65], s[64:65], exec
	s_mov_b32 s68, 0
	s_mov_b64 s[66:67], -1
	s_waitcnt lgkmcnt(0)
	flat_load_dword v1, v[4:5] glc
	s_waitcnt vmcnt(0) lgkmcnt(0)
	buffer_invl2
	buffer_wbinvl1_vol
	v_cmp_eq_u32_e32 vcc, 0, v1
	s_and_b64 vcc, vcc, exec
	s_or_b64 s[64:65], s[64:65], vcc
.LBB4_507:                              ;   in Loop: Header=BB4_505 Depth=3
	s_andn2_b64 s[62:63], s[62:63], exec
	s_and_b64 s[66:67], s[66:67], exec
	s_mov_b64 vcc, -1
	s_or_b64 s[62:63], s[62:63], s[66:67]
	s_and_saveexec_b64 s[66:67], s[64:65]
	s_cbranch_execz .LBB4_504
; %bb.508:                              ;   in Loop: Header=BB4_505 Depth=3
	s_sleep 1
	s_trap 2
	ds_read_b64 v[4:5], v0
	s_andn2_b64 s[62:63], s[62:63], exec
	s_waitcnt lgkmcnt(0)
	v_cmp_ge_u64_e32 vcc, v[4:5], v[34:35]
	s_orn2_b64 vcc, vcc, exec
	s_branch .LBB4_504
.LBB4_509:                              ;   in Loop: Header=BB4_475 Depth=2
	s_or_b64 exec, exec, s[58:59]
	s_and_saveexec_b64 vcc, s[60:61]
	s_xor_b64 vcc, exec, vcc
	s_cbranch_execz .LBB4_511
; %bb.510:                              ;   in Loop: Header=BB4_475 Depth=2
	ds_write_b32 v0, v46
	s_trap 2
.LBB4_511:                              ;   in Loop: Header=BB4_475 Depth=2
	s_or_b64 exec, exec, s[56:57]
	;;#ASMSTART
	s_wakeup
	;;#ASMEND
.LBB4_512:                              ;   in Loop: Header=BB4_475 Depth=2
	s_or_b64 exec, exec, s[54:55]
.LBB4_513:                              ;   in Loop: Header=BB4_475 Depth=2
	s_andn2_saveexec_b64 vcc, s[52:53]
	s_cbranch_execz .LBB4_515
; %bb.514:                              ;   in Loop: Header=BB4_475 Depth=2
	s_waitcnt vmcnt(0) lgkmcnt(0)
	buffer_wbinvl1_vol
	s_barrier
.LBB4_515:                              ;   in Loop: Header=BB4_475 Depth=2
	s_or_b64 exec, exec, vcc
.LBB4_516:                              ;   in Loop: Header=BB4_475 Depth=2
	s_or_b64 exec, exec, s[28:29]
	v_and_b32_e32 v3, 16, v62
	s_and_saveexec_b64 s[28:29], s[24:25]
	s_xor_b64 s[28:29], exec, s[28:29]
	s_cbranch_execz .LBB4_521
; %bb.517:                              ;   in Loop: Header=BB4_475 Depth=2
	s_trap 2
	ds_read_b32 v1, v0
	v_cmp_lt_i32_e32 vcc, 0, v2
	v_and_b32_e32 v4, 16, v62
	v_and_b32_e32 v3, 16, v62
	s_waitcnt lgkmcnt(0)
	v_readfirstlane_b32 s52, v1
	s_cmp_eq_u32 s52, 0
	s_cselect_b64 s[52:53], -1, 0
	s_and_b64 s[52:53], vcc, s[52:53]
	v_cmp_ne_u32_e32 vcc, 0, v4
	s_and_b64 s[52:53], vcc, s[52:53]
	s_and_saveexec_b64 vcc, s[52:53]
	s_cbranch_execz .LBB4_519
; %bb.518:                              ;   in Loop: Header=BB4_475 Depth=2
	v_mov_b32_e32 v3, 1
	s_waitcnt vmcnt(0)
	buffer_wbinvl1_vol
.LBB4_519:                              ;   in Loop: Header=BB4_475 Depth=2
	s_or_b64 exec, exec, vcc
	s_andn2_saveexec_b64 s[28:29], s[28:29]
	s_cbranch_execnz .LBB4_522
.LBB4_520:                              ;   in Loop: Header=BB4_475 Depth=2
	s_or_b64 exec, exec, s[28:29]
	v_cmp_ne_u32_e32 vcc, 0, v3
	s_and_saveexec_b64 s[28:29], vcc
	s_cbranch_execz .LBB4_474
	s_branch .LBB4_540
.LBB4_521:                              ;   in Loop: Header=BB4_475 Depth=2
	s_andn2_saveexec_b64 s[28:29], s[28:29]
	s_cbranch_execz .LBB4_520
.LBB4_522:                              ;   in Loop: Header=BB4_475 Depth=2
	s_and_saveexec_b64 vcc, s[46:47]
	s_xor_b64 s[52:53], exec, vcc
	s_cbranch_execz .LBB4_537
; %bb.523:                              ;   in Loop: Header=BB4_475 Depth=2
	s_and_saveexec_b64 s[54:55], s[16:17]
	s_cbranch_execz .LBB4_536
; %bb.524:                              ;   in Loop: Header=BB4_475 Depth=2
	s_mov_b64 s[58:59], exec
	v_mbcnt_lo_u32_b32 v1, s58, 0
	v_mbcnt_hi_u32_b32 v1, s59, v1
	v_cmp_eq_u32_e32 vcc, 0, v1
	;;#ASMSTART
	s_waitcnt lgkmcnt(0) vmcnt(0)
	;;#ASMEND
	s_and_saveexec_b64 s[56:57], vcc
	s_cbranch_execz .LBB4_526
; %bb.525:                              ;   in Loop: Header=BB4_475 Depth=2
	s_bcnt1_i32_b64 vcc_lo, s[58:59]
	v_mov_b32_e32 v48, vcc_lo
	ds_add_u64 v0, v[48:49]
	s_trap 2
.LBB4_526:                              ;   in Loop: Header=BB4_475 Depth=2
	s_or_b64 exec, exec, s[56:57]
	s_trap 2
	ds_read_b64 v[4:5], v0
	v_add_co_u32_e32 v34, vcc, v34, v50
	v_addc_co_u32_e32 v35, vcc, 0, v35, vcc
	s_waitcnt lgkmcnt(0)
	v_cmp_lt_u64_e32 vcc, v[4:5], v[34:35]
	s_and_saveexec_b64 s[56:57], vcc
	s_cbranch_execz .LBB4_535
; %bb.527:                              ;   in Loop: Header=BB4_475 Depth=2
	s_mov_b32 s68, 0
	s_mov_b64 s[58:59], 0
                                        ; implicit-def: $sgpr60_sgpr61
                                        ; implicit-def: $sgpr62_sgpr63
	s_branch .LBB4_529
.LBB4_528:                              ;   in Loop: Header=BB4_529 Depth=3
	s_or_b64 exec, exec, s[66:67]
	s_and_b64 vcc, exec, vcc
	s_or_b64 s[58:59], vcc, s[58:59]
	s_andn2_b64 vcc, s[60:61], exec
	s_and_b64 s[60:61], s[62:63], exec
	s_or_b64 s[60:61], vcc, s[60:61]
	s_andn2_b64 exec, exec, s[58:59]
	s_cbranch_execz .LBB4_533
.LBB4_529:                              ;   Parent Loop BB4_83 Depth=1
                                        ;     Parent Loop BB4_475 Depth=2
                                        ; =>    This Inner Loop Header: Depth=3
	s_add_i32 s68, s68, 1
	s_cmpk_lg_i32 s68, 0x2710
	s_cselect_b64 s[64:65], -1, 0
	s_and_b64 vcc, exec, s[64:65]
                                        ; implicit-def: $sgpr66_sgpr67
	s_cbranch_vccnz .LBB4_531
; %bb.530:                              ;   in Loop: Header=BB4_529 Depth=3
	s_trap 2
	ds_read_b64 v[4:5], v0
	s_andn2_b64 s[64:65], s[64:65], exec
	s_mov_b32 s68, 0
	s_mov_b64 s[66:67], -1
	s_waitcnt vmcnt(0) lgkmcnt(0)
	flat_load_dword v1, v[4:5] glc
	s_waitcnt vmcnt(0) lgkmcnt(0)
	buffer_invl2
	buffer_wbinvl1_vol
	v_cmp_eq_u32_e32 vcc, 0, v1
	s_and_b64 vcc, vcc, exec
	s_or_b64 s[64:65], s[64:65], vcc
.LBB4_531:                              ;   in Loop: Header=BB4_529 Depth=3
	s_andn2_b64 s[62:63], s[62:63], exec
	s_and_b64 s[66:67], s[66:67], exec
	s_mov_b64 vcc, -1
	s_or_b64 s[62:63], s[62:63], s[66:67]
	s_and_saveexec_b64 s[66:67], s[64:65]
	s_cbranch_execz .LBB4_528
; %bb.532:                              ;   in Loop: Header=BB4_529 Depth=3
	s_sleep 1
	s_trap 2
	ds_read_b64 v[4:5], v0
	s_andn2_b64 s[62:63], s[62:63], exec
	s_waitcnt lgkmcnt(0)
	v_cmp_ge_u64_e32 vcc, v[4:5], v[34:35]
	s_orn2_b64 vcc, vcc, exec
	s_branch .LBB4_528
.LBB4_533:                              ;   in Loop: Header=BB4_475 Depth=2
	s_or_b64 exec, exec, s[58:59]
	s_and_saveexec_b64 vcc, s[60:61]
	s_xor_b64 vcc, exec, vcc
	s_cbranch_execz .LBB4_535
; %bb.534:                              ;   in Loop: Header=BB4_475 Depth=2
	ds_write_b32 v0, v46
	s_trap 2
.LBB4_535:                              ;   in Loop: Header=BB4_475 Depth=2
	s_or_b64 exec, exec, s[56:57]
	;;#ASMSTART
	s_wakeup
	;;#ASMEND
.LBB4_536:                              ;   in Loop: Header=BB4_475 Depth=2
	s_or_b64 exec, exec, s[54:55]
.LBB4_537:                              ;   in Loop: Header=BB4_475 Depth=2
	s_andn2_saveexec_b64 vcc, s[52:53]
	s_cbranch_execz .LBB4_539
; %bb.538:                              ;   in Loop: Header=BB4_475 Depth=2
	;;#ASMSTART
	s_waitcnt lgkmcnt(0) vmcnt(0)
	;;#ASMEND
	s_barrier
.LBB4_539:                              ;   in Loop: Header=BB4_475 Depth=2
	s_or_b64 exec, exec, vcc
	s_or_b64 exec, exec, s[28:29]
	v_cmp_ne_u32_e32 vcc, 0, v3
	s_and_saveexec_b64 s[28:29], vcc
	s_cbranch_execz .LBB4_474
.LBB4_540:                              ;   in Loop: Header=BB4_475 Depth=2
	s_and_saveexec_b64 vcc, s[14:15]
	s_cbranch_execz .LBB4_473
; %bb.541:                              ;   in Loop: Header=BB4_475 Depth=2
	flat_store_dword v[36:37], v46
	s_branch .LBB4_473
.LBB4_542:                              ;   in Loop: Header=BB4_83 Depth=1
	s_or_b64 exec, exec, s[34:35]
.LBB4_543:                              ;   in Loop: Header=BB4_83 Depth=1
	s_or_b64 exec, exec, s[30:31]
	v_accvgpr_read_b32 v55, a21
	v_accvgpr_read_b32 v54, a20
	s_andn2_saveexec_b64 s[30:31], s[52:53]
	s_cbranch_execnz .LBB4_259
.LBB4_544:                              ;   in Loop: Header=BB4_83 Depth=1
	s_or_b64 exec, exec, s[30:31]
	s_andn2_b64 vcc, exec, s[48:49]
	s_cbranch_vccnz .LBB4_803
.LBB4_545:                              ;   in Loop: Header=BB4_83 Depth=1
	s_mov_b32 s68, 1
.LBB4_546:                              ;   Parent Loop BB4_83 Depth=1
                                        ; =>  This Loop Header: Depth=2
                                        ;       Child Loop BB4_549 Depth 3
                                        ;         Child Loop BB4_557 Depth 4
                                        ;         Child Loop BB4_583 Depth 4
	;; [unrolled: 1-line block ×4, first 2 shown]
                                        ;           Child Loop BB4_624 Depth 5
                                        ;         Child Loop BB4_630 Depth 4
                                        ;           Child Loop BB4_631 Depth 5
                                        ;         Child Loop BB4_638 Depth 4
                                        ;         Child Loop BB4_643 Depth 4
                                        ;           Child Loop BB4_644 Depth 5
                                        ;         Child Loop BB4_657 Depth 4
                                        ;         Child Loop BB4_662 Depth 4
	;; [unrolled: 1-line block ×6, first 2 shown]
                                        ;       Child Loop BB4_725 Depth 3
                                        ;         Child Loop BB4_731 Depth 4
                                        ;         Child Loop BB4_769 Depth 4
	;; [unrolled: 1-line block ×3, first 2 shown]
	v_mov_b32_e32 v1, 0
	v_mov_b32_e32 v58, v24
	;; [unrolled: 1-line block ×3, first 2 shown]
	s_and_saveexec_b64 s[52:53], s[26:27]
	s_cbranch_execz .LBB4_722
; %bb.547:                              ;   in Loop: Header=BB4_546 Depth=2
	s_sub_i32 s28, s70, s68
	s_ashr_i32 s29, s28, 31
	s_lshl_b64 s[28:29], s[28:29], 2
	v_accvgpr_read_b32 v2, a4
	v_mov_b32_e32 v1, s29
	v_accvgpr_read_b32 v3, a5
	v_add_co_u32_e32 v2, vcc, s28, v2
	v_addc_co_u32_e32 v3, vcc, v3, v1, vcc
	flat_load_dword v1, v[2:3]
	v_accvgpr_read_b32 v14, a28
	v_accvgpr_read_b32 v3, a14
	;; [unrolled: 1-line block ×4, first 2 shown]
	s_mov_b32 s69, 1
	s_mov_b64 s[56:57], -1
	s_mov_b64 s[54:55], 0
	v_mov_b32_e32 v31, 0
	v_mov_b32_e32 v58, v24
	s_waitcnt vmcnt(0) lgkmcnt(0)
	v_ashrrev_i32_e32 v2, 31, v1
	v_mul_lo_u32 v3, v3, v1
	v_mad_u64_u32 v[60:61], s[28:29], v4, v1, v[14:15]
	v_mul_lo_u32 v1, v4, v2
	v_add3_u32 v61, v3, v61, v1
	s_branch .LBB4_549
.LBB4_548:                              ;   in Loop: Header=BB4_549 Depth=3
	s_or_b64 exec, exec, s[28:29]
	v_add_u32_e32 v31, v58, v31
	v_cmp_ge_i32_e32 vcc, v31, v7
	s_xor_b64 s[28:29], s[56:57], -1
	s_or_b64 s[28:29], s[28:29], vcc
	s_and_b64 s[28:29], exec, s[28:29]
	s_or_b64 s[54:55], s[28:29], s[54:55]
	s_mov_b64 s[56:57], 0
	v_mov_b32_e32 v1, s69
	s_mov_b32 s69, 2
	s_andn2_b64 exec, exec, s[54:55]
	s_cbranch_execz .LBB4_795
.LBB4_549:                              ;   Parent Loop BB4_83 Depth=1
                                        ;     Parent Loop BB4_546 Depth=2
                                        ; =>    This Loop Header: Depth=3
                                        ;         Child Loop BB4_557 Depth 4
                                        ;         Child Loop BB4_583 Depth 4
	;; [unrolled: 1-line block ×4, first 2 shown]
                                        ;           Child Loop BB4_624 Depth 5
                                        ;         Child Loop BB4_630 Depth 4
                                        ;           Child Loop BB4_631 Depth 5
                                        ;         Child Loop BB4_638 Depth 4
                                        ;         Child Loop BB4_643 Depth 4
                                        ;           Child Loop BB4_644 Depth 5
                                        ;         Child Loop BB4_657 Depth 4
                                        ;         Child Loop BB4_662 Depth 4
	;; [unrolled: 1-line block ×6, first 2 shown]
	s_and_saveexec_b64 s[28:29], s[4:5]
	s_cbranch_execz .LBB4_551
; %bb.550:                              ;   in Loop: Header=BB4_549 Depth=3
	s_trap 2
	ds_read_b128 v[2:5], v0
	v_ashrrev_i32_e32 v9, 31, v31
	s_waitcnt lgkmcnt(0)
	v_add_co_u32_e32 v1, vcc, v2, v60
	v_addc_co_u32_e32 v3, vcc, v3, v61, vcc
	v_add_co_u32_e32 v2, vcc, v1, v31
	v_addc_co_u32_e32 v3, vcc, v3, v9, vcc
	v_add_co_u32_e32 v1, vcc, v4, v60
	ds_write_b64 v0, v[2:3]
	v_addc_co_u32_e32 v2, vcc, v5, v61, vcc
	v_add_co_u32_e32 v1, vcc, v1, v31
	v_addc_co_u32_e32 v2, vcc, v2, v9, vcc
	v_cmp_ne_u64_e32 vcc, 0, v[4:5]
	v_cndmask_b32_e32 v3, 0, v2, vcc
	v_cndmask_b32_e32 v2, 0, v1, vcc
	ds_write_b64 v0, v[2:3]
.LBB4_551:                              ;   in Loop: Header=BB4_549 Depth=3
	s_or_b64 exec, exec, s[28:29]
	v_and_b32_e32 v1, 12, v62
	v_cmp_ne_u32_e32 vcc, 0, v1
	s_mov_b64 s[30:31], -1
	s_and_saveexec_b64 s[28:29], vcc
	s_cbranch_execz .LBB4_563
; %bb.552:                              ;   in Loop: Header=BB4_549 Depth=3
	v_and_b32_e32 v2, 8, v62
	v_add_co_u32_e32 v14, vcc, v38, v2
	v_addc_co_u32_e32 v15, vcc, 0, v39, vcc
	v_add_co_u32_e32 v4, vcc, 2, v26
	v_addc_co_u32_e32 v5, vcc, 0, v27, vcc
	v_cmp_lt_u64_e32 vcc, v[14:15], v[4:5]
	v_mov_b32_e32 v1, 1
	s_and_saveexec_b64 s[30:31], vcc
	s_cbranch_execz .LBB4_562
; %bb.553:                              ;   in Loop: Header=BB4_549 Depth=3
	s_mov_b64 s[34:35], 0
	v_mov_b32_e32 v1, 0
                                        ; implicit-def: $sgpr36_sgpr37
	s_branch .LBB4_557
.LBB4_554:                              ;   in Loop: Header=BB4_557 Depth=4
	s_or_b64 exec, exec, s[64:65]
	v_mov_b32_e32 v3, 0
	s_orn2_b64 s[62:63], s[62:63], exec
.LBB4_555:                              ;   in Loop: Header=BB4_557 Depth=4
	s_or_b64 exec, exec, s[60:61]
	s_andn2_b64 vcc, s[36:37], exec
	s_and_b64 s[36:37], s[62:63], exec
	s_or_b64 s[36:37], vcc, s[36:37]
	v_mov_b32_e32 v1, v3
.LBB4_556:                              ;   in Loop: Header=BB4_557 Depth=4
	s_or_b64 exec, exec, s[58:59]
	s_waitcnt vmcnt(0) lgkmcnt(0)
	v_add_co_u32_e32 v14, vcc, v38, v2
	v_addc_co_u32_e32 v15, vcc, 0, v39, vcc
	v_cmp_ge_u64_e32 vcc, v[14:15], v[4:5]
	s_xor_b64 s[58:59], s[36:37], -1
	s_or_b64 vcc, s[58:59], vcc
	s_and_b64 vcc, exec, vcc
	s_or_b64 s[34:35], vcc, s[34:35]
	s_andn2_b64 exec, exec, s[34:35]
	s_cbranch_execz .LBB4_561
.LBB4_557:                              ;   Parent Loop BB4_83 Depth=1
                                        ;     Parent Loop BB4_546 Depth=2
                                        ;       Parent Loop BB4_549 Depth=3
                                        ; =>      This Inner Loop Header: Depth=4
	s_sleep 1
	flat_load_dwordx2 v[38:39], v[28:29] glc
	v_and_b32_e32 v3, 64, v62
	v_cmp_eq_u32_e32 vcc, 0, v3
	s_andn2_b64 s[36:37], s[36:37], exec
	s_and_saveexec_b64 s[58:59], vcc
	s_cbranch_execz .LBB4_556
; %bb.558:                              ;   in Loop: Header=BB4_557 Depth=4
	v_add_u32_e32 v3, 1, v1
	v_cmp_lt_i32_e32 vcc, s72, v1
	s_mov_b64 s[62:63], -1
	s_and_saveexec_b64 s[60:61], vcc
	s_cbranch_execz .LBB4_555
; %bb.559:                              ;   in Loop: Header=BB4_557 Depth=4
	s_trap 2
	ds_read_b64 v[14:15], v0
	s_waitcnt vmcnt(0) lgkmcnt(0)
	flat_load_dword v1, v[14:15] glc
	s_waitcnt vmcnt(0) lgkmcnt(0)
	buffer_invl2
	buffer_wbinvl1_vol
	v_cmp_ne_u32_e32 vcc, 0, v1
	s_and_saveexec_b64 s[64:65], vcc
	s_cbranch_execz .LBB4_554
; %bb.560:                              ;   in Loop: Header=BB4_557 Depth=4
	v_or_b32_e32 v62, 64, v62
	s_xor_b64 s[62:63], exec, -1
	ds_write_b32 v0, v1
	s_trap 2
	s_branch .LBB4_554
.LBB4_561:                              ;   in Loop: Header=BB4_549 Depth=3
	s_or_b64 exec, exec, s[34:35]
	v_and_b32_e32 v1, 12, v62
.LBB4_562:                              ;   in Loop: Header=BB4_549 Depth=3
	s_or_b64 exec, exec, s[30:31]
	v_cmp_eq_u32_e32 vcc, 0, v1
	s_orn2_b64 s[30:31], vcc, exec
	;;#ASMSTART
	s_wakeup
	;;#ASMEND
.LBB4_563:                              ;   in Loop: Header=BB4_549 Depth=3
	s_or_b64 exec, exec, s[28:29]
	v_sub_u32_e32 v1, v7, v31
	s_xor_b64 s[28:29], s[30:31], -1
	v_min_i32_e32 v58, v58, v1
	s_and_saveexec_b64 s[30:31], s[28:29]
	s_cbranch_execz .LBB4_575
; %bb.564:                              ;   in Loop: Header=BB4_549 Depth=3
	v_and_b32_e32 v1, 0x108, v62
	v_cmp_ne_u32_e32 vcc, s73, v1
	v_and_b32_e32 v2, 7, v26
	s_and_saveexec_b64 s[28:29], vcc
	s_xor_b64 s[28:29], exec, s[28:29]
	s_andn2_saveexec_b64 s[28:29], s[28:29]
	s_cbranch_execz .LBB4_566
; %bb.565:                              ;   in Loop: Header=BB4_549 Depth=3
	v_mad_u64_u32 v[4:5], vcc, v2, 24, v[12:13]
	v_ashrrev_i32_e32 v59, 31, v58
	flat_store_dwordx2 v[4:5], v[58:59] offset:8
.LBB4_566:                              ;   in Loop: Header=BB4_549 Depth=3
	s_or_b64 exec, exec, s[28:29]
	v_and_b32_e32 v1, 0x100, v62
	v_cmp_ne_u32_e32 vcc, 0, v1
	s_mov_b64 s[28:29], -1
                                        ; implicit-def: $vgpr4_vgpr5
	s_and_saveexec_b64 s[34:35], vcc
	s_cbranch_execz .LBB4_570
; %bb.567:                              ;   in Loop: Header=BB4_549 Depth=3
	v_mad_u64_u32 v[14:15], s[28:29], v2, 24, v[12:13]
	v_mov_b32_e32 v4, v15
	v_mad_u64_u32 v[4:5], s[28:29], v49, 24, v[4:5]
	v_mov_b32_e32 v15, v4
	flat_load_dword v1, v[14:15]
                                        ; implicit-def: $vgpr4_vgpr5
	s_waitcnt vmcnt(0) lgkmcnt(0)
	v_cmp_ne_u32_e32 vcc, 1, v1
	v_cmp_eq_u32_e64 s[28:29], 1, v1
	s_and_saveexec_b64 s[36:37], s[28:29]
	s_cbranch_execz .LBB4_569
; %bb.568:                              ;   in Loop: Header=BB4_549 Depth=3
	flat_load_dword v4, v[14:15] offset:4 glc
	s_waitcnt vmcnt(0) lgkmcnt(0)
	v_ashrrev_i32_e32 v5, 31, v4
.LBB4_569:                              ;   in Loop: Header=BB4_549 Depth=3
	s_or_b64 exec, exec, s[36:37]
	s_orn2_b64 s[28:29], vcc, exec
.LBB4_570:                              ;   in Loop: Header=BB4_549 Depth=3
	s_or_b64 exec, exec, s[34:35]
	s_and_saveexec_b64 vcc, s[28:29]
; %bb.571:                              ;   in Loop: Header=BB4_549 Depth=3
	v_accvgpr_read_b32 v3, a15
	v_mul_lo_u32 v1, v49, v30
	v_mul_lo_u32 v3, v2, v3
	v_mad_u64_u32 v[4:5], s[28:29], v2, v30, 0
	v_add3_u32 v5, v5, v3, v1
; %bb.572:                              ;   in Loop: Header=BB4_549 Depth=3
	s_or_b64 exec, exec, vcc
	v_add_co_u32_e32 v2, vcc, v32, v4
	v_addc_co_u32_e32 v3, vcc, v33, v5, vcc
	v_and_b32_e32 v1, 0x2000, v62
	v_cmp_ne_u32_e32 vcc, 0, v1
	s_trap 2
	ds_write_b64 v0, v[2:3]
	s_and_saveexec_b64 s[28:29], vcc
	s_cbranch_execz .LBB4_574
; %bb.573:                              ;   in Loop: Header=BB4_549 Depth=3
	ds_read_b64 v[2:3], v0 offset:584
	s_waitcnt lgkmcnt(0)
	v_add_co_u32_e32 v2, vcc, 1, v2
	v_addc_co_u32_e32 v3, vcc, 0, v3, vcc
	ds_write_b64 v0, v[2:3] offset:584
.LBB4_574:                              ;   in Loop: Header=BB4_549 Depth=3
	s_or_b64 exec, exec, s[28:29]
	v_add_co_u32_e32 v26, vcc, 2, v26
	v_addc_co_u32_e32 v27, vcc, 0, v27, vcc
.LBB4_575:                              ;   in Loop: Header=BB4_549 Depth=3
	s_or_b64 exec, exec, s[30:31]
	s_and_saveexec_b64 s[28:29], s[10:11]
	s_cbranch_execz .LBB4_594
; %bb.576:                              ;   in Loop: Header=BB4_549 Depth=3
	s_and_saveexec_b64 vcc, s[46:47]
	s_xor_b64 s[30:31], exec, vcc
	s_cbranch_execz .LBB4_591
; %bb.577:                              ;   in Loop: Header=BB4_549 Depth=3
	s_and_saveexec_b64 s[34:35], s[16:17]
	s_cbranch_execz .LBB4_590
; %bb.578:                              ;   in Loop: Header=BB4_549 Depth=3
	s_mov_b64 s[58:59], exec
	v_mbcnt_lo_u32_b32 v1, s58, 0
	v_mbcnt_hi_u32_b32 v1, s59, v1
	v_cmp_eq_u32_e32 vcc, 0, v1
	s_waitcnt vmcnt(0) lgkmcnt(0)
	buffer_wbinvl1_vol
	s_and_saveexec_b64 s[36:37], vcc
	s_cbranch_execz .LBB4_580
; %bb.579:                              ;   in Loop: Header=BB4_549 Depth=3
	s_bcnt1_i32_b64 vcc_lo, s[58:59]
	v_mov_b32_e32 v48, vcc_lo
	ds_add_u64 v0, v[48:49]
	s_trap 2
.LBB4_580:                              ;   in Loop: Header=BB4_549 Depth=3
	s_or_b64 exec, exec, s[36:37]
	s_trap 2
	ds_read_b64 v[2:3], v0
	v_add_co_u32_e32 v34, vcc, v34, v50
	v_addc_co_u32_e32 v35, vcc, 0, v35, vcc
	s_waitcnt lgkmcnt(0)
	v_cmp_lt_u64_e32 vcc, v[2:3], v[34:35]
	s_and_saveexec_b64 s[36:37], vcc
	s_cbranch_execz .LBB4_589
; %bb.581:                              ;   in Loop: Header=BB4_549 Depth=3
	s_mov_b32 s76, 0
	s_mov_b64 s[58:59], 0
                                        ; implicit-def: $sgpr60_sgpr61
                                        ; implicit-def: $sgpr62_sgpr63
	s_branch .LBB4_583
.LBB4_582:                              ;   in Loop: Header=BB4_583 Depth=4
	s_or_b64 exec, exec, s[66:67]
	s_and_b64 vcc, exec, vcc
	s_or_b64 s[58:59], vcc, s[58:59]
	s_andn2_b64 vcc, s[60:61], exec
	s_and_b64 s[60:61], s[62:63], exec
	s_or_b64 s[60:61], vcc, s[60:61]
	s_andn2_b64 exec, exec, s[58:59]
	s_cbranch_execz .LBB4_587
.LBB4_583:                              ;   Parent Loop BB4_83 Depth=1
                                        ;     Parent Loop BB4_546 Depth=2
                                        ;       Parent Loop BB4_549 Depth=3
                                        ; =>      This Inner Loop Header: Depth=4
	s_add_i32 s76, s76, 1
	s_cmpk_lg_i32 s76, 0x2710
	s_cselect_b64 s[64:65], -1, 0
	s_and_b64 vcc, exec, s[64:65]
                                        ; implicit-def: $sgpr66_sgpr67
	s_cbranch_vccnz .LBB4_585
; %bb.584:                              ;   in Loop: Header=BB4_583 Depth=4
	s_trap 2
	ds_read_b64 v[2:3], v0
	s_andn2_b64 s[64:65], s[64:65], exec
	s_mov_b32 s76, 0
	s_mov_b64 s[66:67], -1
	s_waitcnt lgkmcnt(0)
	flat_load_dword v1, v[2:3] glc
	s_waitcnt vmcnt(0) lgkmcnt(0)
	buffer_invl2
	buffer_wbinvl1_vol
	v_cmp_eq_u32_e32 vcc, 0, v1
	s_and_b64 vcc, vcc, exec
	s_or_b64 s[64:65], s[64:65], vcc
.LBB4_585:                              ;   in Loop: Header=BB4_583 Depth=4
	s_andn2_b64 s[62:63], s[62:63], exec
	s_and_b64 s[66:67], s[66:67], exec
	s_mov_b64 vcc, -1
	s_or_b64 s[62:63], s[62:63], s[66:67]
	s_and_saveexec_b64 s[66:67], s[64:65]
	s_cbranch_execz .LBB4_582
; %bb.586:                              ;   in Loop: Header=BB4_583 Depth=4
	s_sleep 1
	s_trap 2
	ds_read_b64 v[2:3], v0
	s_andn2_b64 s[62:63], s[62:63], exec
	s_waitcnt lgkmcnt(0)
	v_cmp_ge_u64_e32 vcc, v[2:3], v[34:35]
	s_orn2_b64 vcc, vcc, exec
	s_branch .LBB4_582
.LBB4_587:                              ;   in Loop: Header=BB4_549 Depth=3
	s_or_b64 exec, exec, s[58:59]
	s_and_saveexec_b64 vcc, s[60:61]
	s_xor_b64 vcc, exec, vcc
	s_cbranch_execz .LBB4_589
; %bb.588:                              ;   in Loop: Header=BB4_549 Depth=3
	ds_write_b32 v0, v46
	s_trap 2
.LBB4_589:                              ;   in Loop: Header=BB4_549 Depth=3
	s_or_b64 exec, exec, s[36:37]
	;;#ASMSTART
	s_wakeup
	;;#ASMEND
.LBB4_590:                              ;   in Loop: Header=BB4_549 Depth=3
	s_or_b64 exec, exec, s[34:35]
.LBB4_591:                              ;   in Loop: Header=BB4_549 Depth=3
	s_andn2_saveexec_b64 vcc, s[30:31]
	s_cbranch_execz .LBB4_593
; %bb.592:                              ;   in Loop: Header=BB4_549 Depth=3
	s_waitcnt vmcnt(0) lgkmcnt(0)
	buffer_wbinvl1_vol
	s_barrier
.LBB4_593:                              ;   in Loop: Header=BB4_549 Depth=3
	s_or_b64 exec, exec, vcc
.LBB4_594:                              ;   in Loop: Header=BB4_549 Depth=3
	s_or_b64 exec, exec, s[28:29]
	s_trap 2
	ds_read_b32 v2, v0
	v_and_b32_e32 v1, 0x4000, v62
	v_cmp_ne_u32_e32 vcc, 0, v1
	s_xor_b64 s[28:29], s[6:7], -1
	s_and_b64 vcc, s[28:29], vcc
	s_and_saveexec_b64 s[28:29], vcc
	s_cbranch_execz .LBB4_613
; %bb.595:                              ;   in Loop: Header=BB4_549 Depth=3
	s_and_saveexec_b64 vcc, s[46:47]
	s_xor_b64 s[30:31], exec, vcc
	s_cbranch_execz .LBB4_610
; %bb.596:                              ;   in Loop: Header=BB4_549 Depth=3
	s_and_saveexec_b64 s[34:35], s[16:17]
	s_cbranch_execz .LBB4_609
; %bb.597:                              ;   in Loop: Header=BB4_549 Depth=3
	s_mov_b64 s[58:59], exec
	v_mbcnt_lo_u32_b32 v1, s58, 0
	v_mbcnt_hi_u32_b32 v1, s59, v1
	v_cmp_eq_u32_e32 vcc, 0, v1
	s_waitcnt vmcnt(0) lgkmcnt(0)
	buffer_wbinvl1_vol
	s_and_saveexec_b64 s[36:37], vcc
	s_cbranch_execz .LBB4_599
; %bb.598:                              ;   in Loop: Header=BB4_549 Depth=3
	s_bcnt1_i32_b64 vcc_lo, s[58:59]
	v_mov_b32_e32 v48, vcc_lo
	ds_add_u64 v0, v[48:49]
	s_trap 2
.LBB4_599:                              ;   in Loop: Header=BB4_549 Depth=3
	s_or_b64 exec, exec, s[36:37]
	s_trap 2
	ds_read_b64 v[4:5], v0
	v_add_co_u32_e32 v34, vcc, v34, v50
	v_addc_co_u32_e32 v35, vcc, 0, v35, vcc
	s_waitcnt lgkmcnt(0)
	v_cmp_lt_u64_e32 vcc, v[4:5], v[34:35]
	s_and_saveexec_b64 s[36:37], vcc
	s_cbranch_execz .LBB4_608
; %bb.600:                              ;   in Loop: Header=BB4_549 Depth=3
	s_mov_b32 s76, 0
	s_mov_b64 s[58:59], 0
                                        ; implicit-def: $sgpr60_sgpr61
                                        ; implicit-def: $sgpr62_sgpr63
	s_branch .LBB4_602
.LBB4_601:                              ;   in Loop: Header=BB4_602 Depth=4
	s_or_b64 exec, exec, s[66:67]
	s_and_b64 vcc, exec, vcc
	s_or_b64 s[58:59], vcc, s[58:59]
	s_andn2_b64 vcc, s[60:61], exec
	s_and_b64 s[60:61], s[62:63], exec
	s_or_b64 s[60:61], vcc, s[60:61]
	s_andn2_b64 exec, exec, s[58:59]
	s_cbranch_execz .LBB4_606
.LBB4_602:                              ;   Parent Loop BB4_83 Depth=1
                                        ;     Parent Loop BB4_546 Depth=2
                                        ;       Parent Loop BB4_549 Depth=3
                                        ; =>      This Inner Loop Header: Depth=4
	s_add_i32 s76, s76, 1
	s_cmpk_lg_i32 s76, 0x2710
	s_cselect_b64 s[64:65], -1, 0
	s_and_b64 vcc, exec, s[64:65]
                                        ; implicit-def: $sgpr66_sgpr67
	s_cbranch_vccnz .LBB4_604
; %bb.603:                              ;   in Loop: Header=BB4_602 Depth=4
	s_trap 2
	ds_read_b64 v[4:5], v0
	s_andn2_b64 s[64:65], s[64:65], exec
	s_mov_b32 s76, 0
	s_mov_b64 s[66:67], -1
	s_waitcnt lgkmcnt(0)
	flat_load_dword v1, v[4:5] glc
	s_waitcnt vmcnt(0) lgkmcnt(0)
	buffer_invl2
	buffer_wbinvl1_vol
	v_cmp_eq_u32_e32 vcc, 0, v1
	s_and_b64 vcc, vcc, exec
	s_or_b64 s[64:65], s[64:65], vcc
.LBB4_604:                              ;   in Loop: Header=BB4_602 Depth=4
	s_andn2_b64 s[62:63], s[62:63], exec
	s_and_b64 s[66:67], s[66:67], exec
	s_mov_b64 vcc, -1
	s_or_b64 s[62:63], s[62:63], s[66:67]
	s_and_saveexec_b64 s[66:67], s[64:65]
	s_cbranch_execz .LBB4_601
; %bb.605:                              ;   in Loop: Header=BB4_602 Depth=4
	s_sleep 1
	s_trap 2
	ds_read_b64 v[4:5], v0
	s_andn2_b64 s[62:63], s[62:63], exec
	s_waitcnt lgkmcnt(0)
	v_cmp_ge_u64_e32 vcc, v[4:5], v[34:35]
	s_orn2_b64 vcc, vcc, exec
	s_branch .LBB4_601
.LBB4_606:                              ;   in Loop: Header=BB4_549 Depth=3
	s_or_b64 exec, exec, s[58:59]
	s_and_saveexec_b64 vcc, s[60:61]
	s_xor_b64 vcc, exec, vcc
	s_cbranch_execz .LBB4_608
; %bb.607:                              ;   in Loop: Header=BB4_549 Depth=3
	ds_write_b32 v0, v46
	s_trap 2
.LBB4_608:                              ;   in Loop: Header=BB4_549 Depth=3
	s_or_b64 exec, exec, s[36:37]
	;;#ASMSTART
	s_wakeup
	;;#ASMEND
.LBB4_609:                              ;   in Loop: Header=BB4_549 Depth=3
	s_or_b64 exec, exec, s[34:35]
.LBB4_610:                              ;   in Loop: Header=BB4_549 Depth=3
	s_andn2_saveexec_b64 vcc, s[30:31]
	s_cbranch_execz .LBB4_612
; %bb.611:                              ;   in Loop: Header=BB4_549 Depth=3
	s_waitcnt vmcnt(0) lgkmcnt(0)
	buffer_wbinvl1_vol
	s_barrier
.LBB4_612:                              ;   in Loop: Header=BB4_549 Depth=3
	s_or_b64 exec, exec, vcc
.LBB4_613:                              ;   in Loop: Header=BB4_549 Depth=3
	s_or_b64 exec, exec, s[28:29]
	s_trap 2
	ds_read_b64 v[4:5], v0
	v_mov_b32_e32 v59, 0
	s_waitcnt lgkmcnt(0)
	v_readfirstlane_b32 s28, v4
	v_readfirstlane_b32 s29, v5
	s_cmp_eq_u64 s[28:29], 0
	s_cselect_b64 s[28:29], -1, 0
	s_or_b64 s[28:29], s[28:29], s[28:29]
	s_and_b64 vcc, exec, s[28:29]
	s_cbranch_vccnz .LBB4_676
; %bb.614:                              ;   in Loop: Header=BB4_549 Depth=3
	s_trap 2
	ds_read_b64 v[4:5], v0
	v_cmp_eq_u32_e64 s[28:29], 0, v2
	v_cndmask_b32_e64 v59, 0, v58, s[28:29]
	s_mov_b64 s[28:29], -1
	s_waitcnt lgkmcnt(0)
	v_cmp_ne_u64_e32 vcc, 0, v[4:5]
	s_cbranch_vccz .LBB4_648
; %bb.615:                              ;   in Loop: Header=BB4_549 Depth=3
	s_and_saveexec_b64 s[30:31], s[22:23]
	s_cbranch_execz .LBB4_617
; %bb.616:                              ;   in Loop: Header=BB4_549 Depth=3
	ds_read_b32 v1, v0 offset:720
	s_waitcnt lgkmcnt(0)
	v_and_b32_e32 v1, 15, v1
	v_cmp_eq_u32_e32 vcc, 0, v1
	s_orn2_b64 s[28:29], vcc, exec
.LBB4_617:                              ;   in Loop: Header=BB4_549 Depth=3
	s_or_b64 exec, exec, s[30:31]
	s_and_saveexec_b64 s[30:31], s[20:21]
	s_cbranch_execz .LBB4_619
; %bb.618:                              ;   in Loop: Header=BB4_549 Depth=3
	ds_read_b32 v1, v0 offset:784
	s_waitcnt lgkmcnt(0)
	v_and_b32_e32 v1, 15, v1
	v_cmp_eq_u32_e32 vcc, 0, v1
	s_and_b64 vcc, s[28:29], vcc
	s_andn2_b64 s[28:29], s[28:29], exec
	s_and_b64 vcc, vcc, exec
	s_or_b64 s[28:29], s[28:29], vcc
.LBB4_619:                              ;   in Loop: Header=BB4_549 Depth=3
	s_or_b64 exec, exec, s[30:31]
	s_xor_b64 s[28:29], s[28:29], -1
	v_cndmask_b32_e64 v1, 0, 1, s[28:29]
	s_mov_b64 s[30:31], -1
	;;#ASMSTART
	;;#ASMEND
	v_cmp_ne_u32_e32 vcc, 0, v1
	v_mov_b32_e32 v16, 0
	v_mov_b32_e32 v17, v59
	;; [unrolled: 1-line block ×3, first 2 shown]
	s_cbranch_vccz .LBB4_621
; %bb.620:                              ;   in Loop: Header=BB4_549 Depth=3
	s_and_saveexec_b64 s[34:35], s[30:31]
	s_cbranch_execnz .LBB4_636
	s_branch .LBB4_647
.LBB4_621:                              ;   in Loop: Header=BB4_549 Depth=3
	v_ashrrev_i32_e32 v2, 31, v59
	v_lshrrev_b32_e32 v2, 22, v2
	v_add_u32_e32 v2, v59, v2
	v_and_b32_e32 v9, 0xfffffc00, v2
	v_sub_u32_e32 v19, v59, v9
	v_ashrrev_i32_e32 v3, 10, v2
	v_cmp_lt_i32_e64 s[28:29], 15, v19
	v_accvgpr_read_b32 v2, a24
	v_sub_u32_e32 v1, v59, v52
	v_addc_co_u32_e64 v18, vcc, v3, v2, s[28:29]
	v_cmp_lt_i32_e32 vcc, 15, v1
	s_and_saveexec_b64 s[58:59], vcc
	s_cbranch_execz .LBB4_627
; %bb.622:                              ;   in Loop: Header=BB4_549 Depth=3
	s_trap 2
	ds_read_b64 v[14:15], v0
	ds_read_b128 v[2:5], v0
	s_mov_b64 s[60:61], 0
	s_waitcnt lgkmcnt(0)
	v_add_co_u32_e32 v22, vcc, v14, v52
	v_addc_co_u32_e32 v23, vcc, v15, v53, vcc
	v_add_co_u32_e32 v2, vcc, v2, v52
	v_addc_co_u32_e32 v3, vcc, v3, v53, vcc
	;; [unrolled: 2-line block ×3, first 2 shown]
.LBB4_623:                              ;   Parent Loop BB4_83 Depth=1
                                        ;     Parent Loop BB4_546 Depth=2
                                        ;       Parent Loop BB4_549 Depth=3
                                        ; =>      This Loop Header: Depth=4
                                        ;           Child Loop BB4_624 Depth 5
	global_load_dwordx4 v[14:17], v[22:23], off glc slc
	s_mov_b64 s[64:65], -1
	s_mov_b64 s[62:63], 0
	s_waitcnt vmcnt(0)
.LBB4_624:                              ;   Parent Loop BB4_83 Depth=1
                                        ;     Parent Loop BB4_546 Depth=2
                                        ;       Parent Loop BB4_549 Depth=3
                                        ;         Parent Loop BB4_623 Depth=4
                                        ; =>        This Inner Loop Header: Depth=5
	s_cmp_eq_u32 s62, 0
	s_cselect_b64 s[30:31], -1, 0
	s_cmp_eq_u32 s62, 1
	s_cselect_b64 s[36:37], -1, 0
	v_cndmask_b32_e64 v10, 0, 1, s[64:65]
	v_cndmask_b32_e64 v54, v2, v4, s[36:37]
	v_cmp_ne_u32_e64 s[34:35], 1, v10
	v_cndmask_b32_e64 v55, v3, v5, s[36:37]
	v_add_co_u32_e32 v10, vcc, 0x400, v54
	v_addc_co_u32_e32 v48, vcc, 0, v55, vcc
	s_mov_b64 s[64:65], 0
	s_mov_b64 s[62:63], 1
	v_cndmask_b32_e64 v4, v4, v10, s[36:37]
	s_and_b64 vcc, exec, s[34:35]
	v_cndmask_b32_e64 v5, v5, v48, s[36:37]
	v_cndmask_b32_e64 v3, v3, v48, s[30:31]
	;; [unrolled: 1-line block ×3, first 2 shown]
	global_store_dwordx4 v[54:55], v[14:17], off glc slc
	s_cbranch_vccz .LBB4_624
; %bb.625:                              ;   in Loop: Header=BB4_623 Depth=4
	v_add_co_u32_e32 v2, vcc, v2, v44
	v_addc_co_u32_e32 v3, vcc, v3, v43, vcc
	v_add_co_u32_e32 v4, vcc, v4, v44
	v_addc_co_u32_e32 v5, vcc, v5, v43, vcc
	;; [unrolled: 2-line block ×3, first 2 shown]
	v_sub_u32_e32 v1, v1, v47
	v_cmp_gt_i32_e32 vcc, 16, v1
	s_or_b64 s[60:61], vcc, s[60:61]
	v_sub_u32_e32 v18, v18, v50
	s_andn2_b64 exec, exec, s[60:61]
	s_cbranch_execnz .LBB4_623
; %bb.626:                              ;   in Loop: Header=BB4_549 Depth=3
	s_or_b64 exec, exec, s[60:61]
.LBB4_627:                              ;   in Loop: Header=BB4_549 Depth=3
	s_or_b64 exec, exec, s[58:59]
	v_and_b32_e32 v2, 15, v59
	v_cndmask_b32_e64 v1, v19, v2, s[28:29]
	v_cmp_ne_u32_e32 vcc, 0, v1
	s_mov_b64 s[30:31], 0
	v_mov_b32_e32 v16, 0
                                        ; implicit-def: $vgpr17
                                        ; implicit-def: $vgpr22
	s_and_saveexec_b64 s[58:59], vcc
	s_cbranch_execz .LBB4_635
; %bb.628:                              ;   in Loop: Header=BB4_549 Depth=3
	v_sub_u32_e32 v2, v19, v2
	v_cndmask_b32_e64 v2, 0, v2, s[28:29]
	v_cmp_lt_i32_e32 vcc, 0, v18
	v_add_u32_e32 v48, v2, v9
	v_cndmask_b32_e32 v2, 0, v50, vcc
	v_sub_u32_e32 v2, v2, v18
	v_accvgpr_read_b32 v3, a23
	v_lshl_add_u32 v2, v2, 6, v3
	v_ashrrev_i32_e32 v3, 31, v2
	v_lshrrev_b32_e32 v3, 26, v3
	v_add_u32_e32 v3, v2, v3
	v_ashrrev_i32_e32 v4, 6, v3
	v_and_b32_e32 v3, 0xffffffc0, v3
	v_sub_u32_e32 v9, v2, v3
	v_ashrrev_i32_e32 v3, 31, v1
	v_lshrrev_b32_e32 v3, 22, v3
	v_add_u32_e32 v3, v1, v3
	v_and_b32_e32 v18, 0xfffffc00, v3
	v_lshlrev_b32_e32 v2, 4, v9
	v_sub_u32_e32 v19, v1, v18
	v_lshl_add_u32 v2, v4, 10, v2
	v_ashrrev_i32_e32 v5, 10, v3
	v_cmp_lt_i32_e64 s[28:29], 15, v19
	v_sub_u32_e32 v55, v1, v2
	v_addc_co_u32_e64 v3, vcc, 0, v5, s[28:29]
	v_sub_u32_e32 v54, v3, v4
	v_cmp_lt_i32_e32 vcc, 15, v55
	s_and_saveexec_b64 s[60:61], vcc
	s_cbranch_execz .LBB4_634
; %bb.629:                              ;   in Loop: Header=BB4_549 Depth=3
	s_trap 2
	ds_read_b64 v[14:15], v0
	v_add_u32_e32 v10, v2, v48
	ds_read_b128 v[2:5], v0
	v_ashrrev_i32_e32 v16, 31, v10
	s_mov_b64 s[62:63], 0
	s_waitcnt lgkmcnt(0)
	v_add_co_u32_e32 v22, vcc, v14, v10
	v_addc_co_u32_e32 v23, vcc, v15, v16, vcc
	v_add_co_u32_e32 v2, vcc, v2, v10
	v_addc_co_u32_e32 v3, vcc, v3, v16, vcc
	;; [unrolled: 2-line block ×3, first 2 shown]
.LBB4_630:                              ;   Parent Loop BB4_83 Depth=1
                                        ;     Parent Loop BB4_546 Depth=2
                                        ;       Parent Loop BB4_549 Depth=3
                                        ; =>      This Loop Header: Depth=4
                                        ;           Child Loop BB4_631 Depth 5
	global_load_dwordx4 v[14:17], v[22:23], off glc slc
	s_mov_b64 s[66:67], -1
	s_mov_b64 s[64:65], 0
	s_waitcnt vmcnt(0)
.LBB4_631:                              ;   Parent Loop BB4_83 Depth=1
                                        ;     Parent Loop BB4_546 Depth=2
                                        ;       Parent Loop BB4_549 Depth=3
                                        ;         Parent Loop BB4_630 Depth=4
                                        ; =>        This Inner Loop Header: Depth=5
	s_cmp_eq_u32 s64, 0
	s_cselect_b64 s[30:31], -1, 0
	s_cmp_eq_u32 s64, 1
	s_cselect_b64 s[36:37], -1, 0
	v_cndmask_b32_e64 v10, 0, 1, s[66:67]
	v_cndmask_b32_e64 v56, v2, v4, s[36:37]
	v_cmp_ne_u32_e64 s[34:35], 1, v10
	v_cndmask_b32_e64 v57, v3, v5, s[36:37]
	v_add_co_u32_e32 v10, vcc, 0x400, v56
	v_addc_co_u32_e32 v51, vcc, 0, v57, vcc
	s_mov_b64 s[66:67], 0
	s_mov_b64 s[64:65], 1
	v_cndmask_b32_e64 v4, v4, v10, s[36:37]
	s_and_b64 vcc, exec, s[34:35]
	v_cndmask_b32_e64 v5, v5, v51, s[36:37]
	v_cndmask_b32_e64 v3, v3, v51, s[30:31]
	;; [unrolled: 1-line block ×3, first 2 shown]
	global_store_dwordx4 v[56:57], v[14:17], off glc slc
	s_cbranch_vccz .LBB4_631
; %bb.632:                              ;   in Loop: Header=BB4_630 Depth=4
	v_add_co_u32_e32 v2, vcc, v2, v44
	v_addc_co_u32_e32 v3, vcc, v3, v43, vcc
	v_add_co_u32_e32 v4, vcc, v4, v44
	v_addc_co_u32_e32 v5, vcc, v5, v43, vcc
	;; [unrolled: 2-line block ×3, first 2 shown]
	v_sub_u32_e32 v55, v55, v47
	v_cmp_gt_i32_e32 vcc, 16, v55
	s_or_b64 s[62:63], vcc, s[62:63]
	v_sub_u32_e32 v54, v54, v50
	s_andn2_b64 exec, exec, s[62:63]
	s_cbranch_execnz .LBB4_630
; %bb.633:                              ;   in Loop: Header=BB4_549 Depth=3
	s_or_b64 exec, exec, s[62:63]
.LBB4_634:                              ;   in Loop: Header=BB4_549 Depth=3
	s_or_b64 exec, exec, s[60:61]
	v_and_b32_e32 v1, 15, v1
	v_cmp_lt_i32_e32 vcc, 0, v54
	v_sub_u32_e32 v2, v19, v1
	v_cndmask_b32_e64 v17, v19, v1, s[28:29]
	v_cndmask_b32_e32 v1, 0, v50, vcc
	v_cndmask_b32_e64 v2, 0, v2, s[28:29]
	v_sub_u32_e32 v1, v1, v54
	v_cmp_ne_u32_e32 vcc, 0, v17
	v_add3_u32 v16, v18, v48, v2
	v_lshl_add_u32 v22, v1, 6, v9
	s_and_b64 s[30:31], vcc, exec
.LBB4_635:                              ;   in Loop: Header=BB4_549 Depth=3
	s_or_b64 exec, exec, s[58:59]
	s_and_saveexec_b64 s[34:35], s[30:31]
	s_cbranch_execz .LBB4_647
.LBB4_636:                              ;   in Loop: Header=BB4_549 Depth=3
	v_ashrrev_i32_e32 v1, 31, v22
	v_lshrrev_b32_e32 v1, 26, v1
	v_add_u32_e32 v2, v22, v1
	v_ashrrev_i32_e32 v1, 31, v17
	v_lshrrev_b32_e32 v1, 23, v1
	v_add_u32_e32 v1, v17, v1
	v_ashrrev_i32_e32 v23, 6, v2
	v_ashrrev_i32_e32 v1, 9, v1
	v_sub_u32_e32 v48, v1, v23
	v_cmp_lt_i32_e32 vcc, 0, v48
	s_and_saveexec_b64 s[28:29], vcc
	s_cbranch_execz .LBB4_640
; %bb.637:                              ;   in Loop: Header=BB4_549 Depth=3
	v_and_b32_e32 v2, 0xffffffc0, v2
	s_trap 2
	v_sub_u32_e32 v9, v22, v2
	ds_read_b64 v[14:15], v0
	ds_read_b128 v[2:5], v0
	v_lshlrev_b32_e32 v10, 9, v23
	v_add3_u32 v9, v16, v9, v10
	v_ashrrev_i32_e32 v10, 31, v9
	s_mov_b64 s[30:31], 0
	s_waitcnt lgkmcnt(0)
	v_add_co_u32_e32 v2, vcc, v2, v9
	v_addc_co_u32_e32 v3, vcc, v3, v10, vcc
	v_add_co_u32_e32 v4, vcc, v4, v9
	v_addc_co_u32_e32 v5, vcc, v5, v10, vcc
	;; [unrolled: 2-line block ×4, first 2 shown]
.LBB4_638:                              ;   Parent Loop BB4_83 Depth=1
                                        ;     Parent Loop BB4_546 Depth=2
                                        ;       Parent Loop BB4_549 Depth=3
                                        ; =>      This Inner Loop Header: Depth=4
	v_add_co_u32_e32 v18, vcc, 0xfffffe40, v14
	v_addc_co_u32_e32 v19, vcc, -1, v15, vcc
	v_add_co_u32_e32 v54, vcc, 0xfffffe80, v14
	v_addc_co_u32_e32 v55, vcc, -1, v15, vcc
	flat_load_ubyte v10, v[18:19] glc slc
	v_add_co_u32_e32 v18, vcc, 0xfffffec0, v14
	v_addc_co_u32_e32 v19, vcc, -1, v15, vcc
	flat_load_ubyte v51, v[54:55] glc slc
	v_add_co_u32_e32 v54, vcc, 0xffffff00, v14
	flat_load_ubyte v9, v[14:15] glc slc
	v_addc_co_u32_e32 v55, vcc, -1, v15, vcc
	flat_load_ubyte v45, v[18:19] glc slc
	v_add_co_u32_e32 v18, vcc, 0xffffff40, v14
	v_addc_co_u32_e32 v19, vcc, -1, v15, vcc
	flat_load_ubyte v56, v[54:55] glc slc
	v_add_co_u32_e32 v54, vcc, 0xffffff80, v14
	;; [unrolled: 3-line block ×3, first 2 shown]
	flat_load_ubyte v54, v[54:55] glc slc
	v_addc_co_u32_e32 v19, vcc, -1, v15, vcc
	flat_load_ubyte v18, v[18:19] glc slc
	v_sub_u32_e32 v48, v48, v50
	v_cmp_gt_i32_e32 vcc, 1, v48
	s_or_b64 s[30:31], vcc, s[30:31]
	v_add_co_u32_e32 v14, vcc, v14, v40
	v_addc_co_u32_e32 v15, vcc, v15, v20, vcc
	s_waitcnt vmcnt(0) lgkmcnt(0)
	flat_store_byte v[2:3], v9 offset:448 glc slc
	flat_store_byte v[2:3], v10 glc slc
	flat_store_byte v[2:3], v51 offset:64 glc slc
	flat_store_byte v[2:3], v45 offset:128 glc slc
	;; [unrolled: 1-line block ×6, first 2 shown]
	flat_store_byte v[4:5], v10 glc slc
	flat_store_byte v[4:5], v51 offset:64 glc slc
	flat_store_byte v[4:5], v45 offset:128 glc slc
	;; [unrolled: 1-line block ×7, first 2 shown]
	v_add_co_u32_e32 v2, vcc, v2, v40
	v_addc_co_u32_e32 v3, vcc, v3, v20, vcc
	v_add_co_u32_e32 v4, vcc, v4, v40
	v_addc_co_u32_e32 v5, vcc, v5, v20, vcc
	s_andn2_b64 exec, exec, s[30:31]
	s_cbranch_execnz .LBB4_638
; %bb.639:                              ;   in Loop: Header=BB4_549 Depth=3
	s_or_b64 exec, exec, s[30:31]
.LBB4_640:                              ;   in Loop: Header=BB4_549 Depth=3
	s_or_b64 exec, exec, s[28:29]
	v_lshlrev_b32_e32 v1, 9, v1
	v_cmp_ne_u32_e32 vcc, v17, v1
	s_and_saveexec_b64 s[36:37], vcc
	s_cbranch_execz .LBB4_646
; %bb.641:                              ;   in Loop: Header=BB4_549 Depth=3
	v_lshlrev_b32_e32 v2, 6, v23
	v_sub_u32_e32 v2, v22, v2
	v_lshlrev_b32_e32 v3, 6, v48
	v_sub_u32_e32 v2, v2, v3
	v_add_u32_e32 v2, v1, v2
	v_sub_u32_e32 v1, v17, v2
	v_cmp_lt_i32_e32 vcc, 0, v1
	s_and_b64 exec, exec, vcc
	s_cbranch_execz .LBB4_646
; %bb.642:                              ;   in Loop: Header=BB4_549 Depth=3
	s_trap 2
	ds_read_b64 v[14:15], v0
	v_add_u32_e32 v9, v2, v16
	ds_read_b128 v[2:5], v0
	v_ashrrev_i32_e32 v10, 31, v9
	s_mov_b64 s[58:59], 0
	s_waitcnt lgkmcnt(0)
	v_add_co_u32_e32 v14, vcc, v14, v9
	v_addc_co_u32_e32 v15, vcc, v15, v10, vcc
	v_add_co_u32_e32 v2, vcc, v2, v9
	v_addc_co_u32_e32 v3, vcc, v3, v10, vcc
	;; [unrolled: 2-line block ×3, first 2 shown]
.LBB4_643:                              ;   Parent Loop BB4_83 Depth=1
                                        ;     Parent Loop BB4_546 Depth=2
                                        ;       Parent Loop BB4_549 Depth=3
                                        ; =>      This Loop Header: Depth=4
                                        ;           Child Loop BB4_644 Depth 5
	flat_load_ubyte v9, v[14:15] glc slc
	s_mov_b64 s[60:61], -1
	s_mov_b64 s[62:63], 0
	s_waitcnt vmcnt(0)
.LBB4_644:                              ;   Parent Loop BB4_83 Depth=1
                                        ;     Parent Loop BB4_546 Depth=2
                                        ;       Parent Loop BB4_549 Depth=3
                                        ;         Parent Loop BB4_643 Depth=4
                                        ; =>        This Inner Loop Header: Depth=5
	s_cmp_eq_u32 s62, 1
	s_cselect_b64 vcc, -1, 0
	v_cndmask_b32_e32 v16, v2, v4, vcc
	v_cndmask_b32_e32 v17, v3, v5, vcc
	v_add_co_u32_e64 v10, s[28:29], 64, v16
	s_cmp_eq_u32 s62, 0
	s_waitcnt lgkmcnt(0)
	flat_store_byte v[16:17], v9 glc slc
	v_addc_co_u32_e64 v16, s[28:29], 0, v17, s[28:29]
	s_cselect_b64 s[28:29], -1, 0
	s_and_b64 s[30:31], exec, s[60:61]
	s_mov_b64 s[62:63], 1
	s_mov_b64 s[60:61], 0
	v_cndmask_b32_e32 v5, v5, v16, vcc
	v_cndmask_b32_e32 v4, v4, v10, vcc
	v_cndmask_b32_e64 v3, v3, v16, s[28:29]
	v_cndmask_b32_e64 v2, v2, v10, s[28:29]
	s_mov_b64 vcc, s[30:31]
	s_cbranch_vccnz .LBB4_644
; %bb.645:                              ;   in Loop: Header=BB4_643 Depth=4
	v_add_co_u32_e32 v2, vcc, v2, v42
	v_addc_co_u32_e32 v3, vcc, v3, v41, vcc
	v_add_co_u32_e32 v4, vcc, v4, v42
	v_addc_co_u32_e32 v5, vcc, v5, v41, vcc
	v_sub_u32_e32 v1, v1, v25
	v_cmp_gt_i32_e32 vcc, 1, v1
	s_or_b64 s[58:59], vcc, s[58:59]
	v_add_co_u32_e32 v14, vcc, v21, v14
	v_addc_co_u32_e32 v15, vcc, v8, v15, vcc
	s_andn2_b64 exec, exec, s[58:59]
	s_cbranch_execnz .LBB4_643
.LBB4_646:                              ;   in Loop: Header=BB4_549 Depth=3
	s_or_b64 exec, exec, s[36:37]
.LBB4_647:                              ;   in Loop: Header=BB4_549 Depth=3
	s_or_b64 exec, exec, s[34:35]
	s_mov_b64 s[28:29], 0
.LBB4_648:                              ;   in Loop: Header=BB4_549 Depth=3
	s_and_b64 vcc, exec, s[28:29]
	s_cbranch_vccz .LBB4_676
; %bb.649:                              ;   in Loop: Header=BB4_549 Depth=3
	s_mov_b64 s[28:29], -1
	s_and_saveexec_b64 s[30:31], s[22:23]
	s_cbranch_execz .LBB4_651
; %bb.650:                              ;   in Loop: Header=BB4_549 Depth=3
	ds_read_b32 v1, v0 offset:720
	s_waitcnt lgkmcnt(0)
	v_and_b32_e32 v1, 15, v1
	v_cmp_eq_u32_e32 vcc, 0, v1
	s_orn2_b64 s[28:29], vcc, exec
.LBB4_651:                              ;   in Loop: Header=BB4_549 Depth=3
	s_or_b64 exec, exec, s[30:31]
	s_and_saveexec_b64 s[30:31], s[18:19]
	s_cbranch_execz .LBB4_653
; %bb.652:                              ;   in Loop: Header=BB4_549 Depth=3
	ds_read_b32 v1, v0 offset:784
	s_waitcnt lgkmcnt(0)
	v_and_b32_e32 v1, 15, v1
	v_cmp_eq_u32_e32 vcc, 0, v1
	s_and_b64 vcc, s[28:29], vcc
	s_andn2_b64 s[28:29], s[28:29], exec
	s_and_b64 vcc, vcc, exec
	s_or_b64 s[28:29], s[28:29], vcc
.LBB4_653:                              ;   in Loop: Header=BB4_549 Depth=3
	s_or_b64 exec, exec, s[30:31]
	s_xor_b64 s[28:29], s[28:29], -1
	v_cndmask_b32_e64 v1, 0, 1, s[28:29]
	;;#ASMSTART
	;;#ASMEND
	s_mov_b64 s[34:35], -1
	v_cmp_ne_u32_e32 vcc, 0, v1
	v_mov_b32_e32 v1, 0
	v_mov_b32_e32 v9, v59
	;; [unrolled: 1-line block ×3, first 2 shown]
	s_cbranch_vccz .LBB4_655
; %bb.654:                              ;   in Loop: Header=BB4_549 Depth=3
	s_and_saveexec_b64 s[28:29], s[34:35]
	s_cbranch_execnz .LBB4_666
	s_branch .LBB4_675
.LBB4_655:                              ;   in Loop: Header=BB4_549 Depth=3
	v_ashrrev_i32_e32 v2, 31, v59
	v_lshrrev_b32_e32 v2, 22, v2
	v_add_u32_e32 v2, v59, v2
	v_and_b32_e32 v15, 0xfffffc00, v2
	v_sub_u32_e32 v18, v59, v15
	v_ashrrev_i32_e32 v3, 10, v2
	v_cmp_lt_i32_e32 vcc, 15, v18
	v_accvgpr_read_b32 v2, a24
	v_sub_u32_e32 v1, v59, v52
	v_addc_co_u32_e64 v17, s[28:29], v3, v2, vcc
	v_cmp_lt_i32_e64 s[28:29], 15, v1
	s_and_saveexec_b64 s[30:31], s[28:29]
	s_cbranch_execz .LBB4_659
; %bb.656:                              ;   in Loop: Header=BB4_549 Depth=3
	s_trap 2
	ds_read_b64 v[2:3], v0
	s_mov_b64 s[34:35], 0
	v_pk_mov_b32 v[4:5], v[52:53], v[52:53] op_sel:[0,1]
.LBB4_657:                              ;   Parent Loop BB4_83 Depth=1
                                        ;     Parent Loop BB4_546 Depth=2
                                        ;       Parent Loop BB4_549 Depth=3
                                        ; =>      This Inner Loop Header: Depth=4
	s_waitcnt lgkmcnt(0)
	v_add_co_u32_e64 v22, s[28:29], v2, v4
	v_addc_co_u32_e64 v23, s[28:29], v3, v5, s[28:29]
	global_load_dwordx4 v[54:57], v[22:23], off glc slc
	v_add_co_u32_e64 v4, s[28:29], v4, v11
	v_sub_u32_e32 v1, v1, v47
	v_addc_co_u32_e64 v5, s[28:29], v5, v6, s[28:29]
	v_cmp_gt_i32_e64 s[28:29], 16, v1
	v_sub_u32_e32 v17, v17, v50
	s_or_b64 s[34:35], s[28:29], s[34:35]
	s_waitcnt vmcnt(0)
	global_store_dwordx4 v[22:23], v[54:57], off glc slc
	s_andn2_b64 exec, exec, s[34:35]
	s_cbranch_execnz .LBB4_657
; %bb.658:                              ;   in Loop: Header=BB4_549 Depth=3
	s_or_b64 exec, exec, s[34:35]
.LBB4_659:                              ;   in Loop: Header=BB4_549 Depth=3
	s_or_b64 exec, exec, s[30:31]
	v_and_b32_e32 v2, 15, v59
	v_cndmask_b32_e32 v14, v18, v2, vcc
	v_cmp_ne_u32_e64 s[28:29], 0, v14
	s_mov_b64 s[34:35], 0
	v_mov_b32_e32 v1, 0
                                        ; implicit-def: $vgpr9
                                        ; implicit-def: $vgpr16
	s_and_saveexec_b64 s[30:31], s[28:29]
	s_cbranch_execz .LBB4_665
; %bb.660:                              ;   in Loop: Header=BB4_549 Depth=3
	v_sub_u32_e32 v1, v18, v2
	v_cndmask_b32_e32 v1, 0, v1, vcc
	v_cmp_lt_i32_e32 vcc, 0, v17
	v_cndmask_b32_e32 v2, 0, v50, vcc
	v_sub_u32_e32 v2, v2, v17
	v_accvgpr_read_b32 v3, a23
	v_lshl_add_u32 v2, v2, 6, v3
	v_ashrrev_i32_e32 v3, 31, v2
	v_lshrrev_b32_e32 v3, 26, v3
	v_add_u32_e32 v3, v2, v3
	v_ashrrev_i32_e32 v5, 6, v3
	v_and_b32_e32 v3, 0xffffffc0, v3
	v_add_u32_e32 v1, v1, v15
	v_sub_u32_e32 v15, v2, v3
	v_lshlrev_b32_e32 v2, 4, v15
	v_lshl_add_u32 v4, v5, 10, v2
	v_ashrrev_i32_e32 v2, 31, v14
	v_lshrrev_b32_e32 v2, 22, v2
	v_add_u32_e32 v2, v14, v2
	v_and_b32_e32 v9, 0xfffffc00, v2
	v_sub_u32_e32 v16, v14, v9
	v_ashrrev_i32_e32 v3, 10, v2
	v_cmp_lt_i32_e32 vcc, 15, v16
	v_sub_u32_e32 v18, v14, v4
	v_addc_co_u32_e64 v2, s[28:29], 0, v3, vcc
	v_sub_u32_e32 v17, v2, v5
	v_cmp_lt_i32_e64 s[28:29], 15, v18
	s_and_saveexec_b64 s[34:35], s[28:29]
	s_cbranch_execz .LBB4_664
; %bb.661:                              ;   in Loop: Header=BB4_549 Depth=3
	s_trap 2
	ds_read_b64 v[2:3], v0
	v_add_u32_e32 v4, v4, v1
	v_ashrrev_i32_e32 v5, 31, v4
	s_mov_b64 s[36:37], 0
.LBB4_662:                              ;   Parent Loop BB4_83 Depth=1
                                        ;     Parent Loop BB4_546 Depth=2
                                        ;       Parent Loop BB4_549 Depth=3
                                        ; =>      This Inner Loop Header: Depth=4
	s_waitcnt lgkmcnt(0)
	v_add_co_u32_e64 v22, s[28:29], v2, v4
	v_addc_co_u32_e64 v23, s[28:29], v3, v5, s[28:29]
	global_load_dwordx4 v[54:57], v[22:23], off glc slc
	v_add_co_u32_e64 v4, s[28:29], v4, v11
	v_sub_u32_e32 v18, v18, v47
	v_addc_co_u32_e64 v5, s[28:29], v5, v6, s[28:29]
	v_cmp_gt_i32_e64 s[28:29], 16, v18
	v_sub_u32_e32 v17, v17, v50
	s_or_b64 s[36:37], s[28:29], s[36:37]
	s_waitcnt vmcnt(0)
	global_store_dwordx4 v[22:23], v[54:57], off glc slc
	s_andn2_b64 exec, exec, s[36:37]
	s_cbranch_execnz .LBB4_662
; %bb.663:                              ;   in Loop: Header=BB4_549 Depth=3
	s_or_b64 exec, exec, s[36:37]
.LBB4_664:                              ;   in Loop: Header=BB4_549 Depth=3
	s_or_b64 exec, exec, s[34:35]
	v_and_b32_e32 v2, 15, v14
	v_sub_u32_e32 v3, v16, v2
	v_cndmask_b32_e32 v3, 0, v3, vcc
	v_add3_u32 v1, v9, v1, v3
	v_cndmask_b32_e32 v9, v16, v2, vcc
	v_cmp_lt_i32_e32 vcc, 0, v17
	v_cndmask_b32_e32 v2, 0, v50, vcc
	v_sub_u32_e32 v2, v2, v17
	v_cmp_ne_u32_e32 vcc, 0, v9
	v_lshl_add_u32 v16, v2, 6, v15
	s_and_b64 s[34:35], vcc, exec
.LBB4_665:                              ;   in Loop: Header=BB4_549 Depth=3
	s_or_b64 exec, exec, s[30:31]
	s_and_saveexec_b64 s[28:29], s[34:35]
	s_cbranch_execz .LBB4_675
.LBB4_666:                              ;   in Loop: Header=BB4_549 Depth=3
	v_ashrrev_i32_e32 v2, 31, v16
	v_lshrrev_b32_e32 v2, 26, v2
	v_add_u32_e32 v4, v16, v2
	v_ashrrev_i32_e32 v2, 31, v9
	v_lshrrev_b32_e32 v2, 23, v2
	v_add_u32_e32 v2, v9, v2
	v_ashrrev_i32_e32 v17, 6, v4
	v_ashrrev_i32_e32 v19, 9, v2
	v_sub_u32_e32 v18, v19, v17
	v_cmp_lt_i32_e32 vcc, 0, v18
	s_and_saveexec_b64 s[30:31], vcc
	s_cbranch_execz .LBB4_670
; %bb.667:                              ;   in Loop: Header=BB4_549 Depth=3
	s_trap 2
	ds_read_b64 v[2:3], v0
	v_and_b32_e32 v4, 0xffffffc0, v4
	v_sub_u32_e32 v4, v16, v4
	v_lshlrev_b32_e32 v5, 9, v17
	v_add3_u32 v4, v1, v4, v5
	v_ashrrev_i32_e32 v5, 31, v4
	s_mov_b64 s[34:35], 0
	s_waitcnt lgkmcnt(0)
	v_pk_mov_b32 v[14:15], v[2:3], v[2:3] op_sel:[0,1]
.LBB4_668:                              ;   Parent Loop BB4_83 Depth=1
                                        ;     Parent Loop BB4_546 Depth=2
                                        ;       Parent Loop BB4_549 Depth=3
                                        ; =>      This Inner Loop Header: Depth=4
	v_add_co_u32_e32 v22, vcc, v4, v14
	v_addc_co_u32_e32 v23, vcc, v5, v15, vcc
	flat_load_ubyte v10, v[22:23] glc slc
	flat_load_ubyte v48, v[22:23] offset:64 glc slc
	flat_load_ubyte v51, v[22:23] offset:128 glc slc
	;; [unrolled: 1-line block ×7, first 2 shown]
	v_add_co_u32_e32 v22, vcc, v4, v2
	v_addc_co_u32_e32 v23, vcc, v5, v3, vcc
	v_add_co_u32_e32 v14, vcc, v14, v40
	v_addc_co_u32_e32 v15, vcc, v15, v20, vcc
	v_add_co_u32_e32 v2, vcc, v2, v40
	v_sub_u32_e32 v18, v18, v50
	v_addc_co_u32_e32 v3, vcc, v3, v20, vcc
	v_cmp_gt_i32_e32 vcc, 1, v18
	s_or_b64 s[34:35], vcc, s[34:35]
	s_waitcnt vmcnt(0) lgkmcnt(0)
	flat_store_byte v[22:23], v10 glc slc
	flat_store_byte v[22:23], v48 offset:64 glc slc
	flat_store_byte v[22:23], v51 offset:128 glc slc
	;; [unrolled: 1-line block ×7, first 2 shown]
	s_andn2_b64 exec, exec, s[34:35]
	s_cbranch_execnz .LBB4_668
; %bb.669:                              ;   in Loop: Header=BB4_549 Depth=3
	s_or_b64 exec, exec, s[34:35]
.LBB4_670:                              ;   in Loop: Header=BB4_549 Depth=3
	s_or_b64 exec, exec, s[30:31]
	v_lshlrev_b32_e32 v2, 9, v19
	v_cmp_ne_u32_e32 vcc, v9, v2
	s_and_saveexec_b64 s[30:31], vcc
	s_cbranch_execz .LBB4_674
; %bb.671:                              ;   in Loop: Header=BB4_549 Depth=3
	v_lshlrev_b32_e32 v3, 6, v17
	v_sub_u32_e32 v3, v16, v3
	v_lshlrev_b32_e32 v4, 6, v18
	v_sub_u32_e32 v3, v3, v4
	v_add_u32_e32 v4, v2, v3
	v_sub_u32_e32 v9, v9, v4
	v_cmp_lt_i32_e32 vcc, 0, v9
	s_and_b64 exec, exec, vcc
	s_cbranch_execz .LBB4_674
; %bb.672:                              ;   in Loop: Header=BB4_549 Depth=3
	s_trap 2
	ds_read_b64 v[2:3], v0
	v_add_u32_e32 v4, v4, v1
	v_ashrrev_i32_e32 v5, 31, v4
	s_mov_b64 s[34:35], 0
.LBB4_673:                              ;   Parent Loop BB4_83 Depth=1
                                        ;     Parent Loop BB4_546 Depth=2
                                        ;       Parent Loop BB4_549 Depth=3
                                        ; =>      This Inner Loop Header: Depth=4
	s_waitcnt lgkmcnt(0)
	v_add_co_u32_e32 v14, vcc, v2, v4
	v_addc_co_u32_e32 v15, vcc, v3, v5, vcc
	flat_load_ubyte v1, v[14:15] glc slc
	v_add_co_u32_e32 v4, vcc, v4, v21
	v_sub_u32_e32 v9, v9, v25
	v_addc_co_u32_e32 v5, vcc, v5, v8, vcc
	v_cmp_gt_i32_e32 vcc, 1, v9
	s_or_b64 s[34:35], vcc, s[34:35]
	s_waitcnt vmcnt(0) lgkmcnt(0)
	flat_store_byte v[14:15], v1 glc slc
	s_andn2_b64 exec, exec, s[34:35]
	s_cbranch_execnz .LBB4_673
.LBB4_674:                              ;   in Loop: Header=BB4_549 Depth=3
	s_or_b64 exec, exec, s[30:31]
.LBB4_675:                              ;   in Loop: Header=BB4_549 Depth=3
	s_or_b64 exec, exec, s[28:29]
.LBB4_676:                              ;   in Loop: Header=BB4_549 Depth=3
	s_and_saveexec_b64 s[28:29], s[10:11]
	s_cbranch_execz .LBB4_695
; %bb.677:                              ;   in Loop: Header=BB4_549 Depth=3
	s_and_saveexec_b64 vcc, s[46:47]
	s_xor_b64 s[30:31], exec, vcc
	s_cbranch_execz .LBB4_692
; %bb.678:                              ;   in Loop: Header=BB4_549 Depth=3
	s_and_saveexec_b64 s[34:35], s[16:17]
	s_cbranch_execz .LBB4_691
; %bb.679:                              ;   in Loop: Header=BB4_549 Depth=3
	s_mov_b64 s[58:59], exec
	v_mbcnt_lo_u32_b32 v1, s58, 0
	v_mbcnt_hi_u32_b32 v1, s59, v1
	v_cmp_eq_u32_e32 vcc, 0, v1
	s_waitcnt vmcnt(0) lgkmcnt(0)
	buffer_wbinvl1_vol
	s_and_saveexec_b64 s[36:37], vcc
	s_cbranch_execz .LBB4_681
; %bb.680:                              ;   in Loop: Header=BB4_549 Depth=3
	s_bcnt1_i32_b64 vcc_lo, s[58:59]
	v_mov_b32_e32 v48, vcc_lo
	ds_add_u64 v0, v[48:49]
	s_trap 2
.LBB4_681:                              ;   in Loop: Header=BB4_549 Depth=3
	s_or_b64 exec, exec, s[36:37]
	s_trap 2
	ds_read_b64 v[2:3], v0
	v_add_co_u32_e32 v34, vcc, v34, v50
	v_addc_co_u32_e32 v35, vcc, 0, v35, vcc
	s_waitcnt lgkmcnt(0)
	v_cmp_lt_u64_e32 vcc, v[2:3], v[34:35]
	s_and_saveexec_b64 s[36:37], vcc
	s_cbranch_execz .LBB4_690
; %bb.682:                              ;   in Loop: Header=BB4_549 Depth=3
	s_mov_b32 s76, 0
	s_mov_b64 s[58:59], 0
                                        ; implicit-def: $sgpr60_sgpr61
                                        ; implicit-def: $sgpr62_sgpr63
	s_branch .LBB4_684
.LBB4_683:                              ;   in Loop: Header=BB4_684 Depth=4
	s_or_b64 exec, exec, s[66:67]
	s_and_b64 vcc, exec, vcc
	s_or_b64 s[58:59], vcc, s[58:59]
	s_andn2_b64 vcc, s[60:61], exec
	s_and_b64 s[60:61], s[62:63], exec
	s_or_b64 s[60:61], vcc, s[60:61]
	s_andn2_b64 exec, exec, s[58:59]
	s_cbranch_execz .LBB4_688
.LBB4_684:                              ;   Parent Loop BB4_83 Depth=1
                                        ;     Parent Loop BB4_546 Depth=2
                                        ;       Parent Loop BB4_549 Depth=3
                                        ; =>      This Inner Loop Header: Depth=4
	s_add_i32 s76, s76, 1
	s_cmpk_lg_i32 s76, 0x2710
	s_cselect_b64 s[64:65], -1, 0
	s_and_b64 vcc, exec, s[64:65]
                                        ; implicit-def: $sgpr66_sgpr67
	s_cbranch_vccnz .LBB4_686
; %bb.685:                              ;   in Loop: Header=BB4_684 Depth=4
	s_trap 2
	ds_read_b64 v[2:3], v0
	s_andn2_b64 s[64:65], s[64:65], exec
	s_mov_b32 s76, 0
	s_mov_b64 s[66:67], -1
	s_waitcnt lgkmcnt(0)
	flat_load_dword v1, v[2:3] glc
	s_waitcnt vmcnt(0) lgkmcnt(0)
	buffer_invl2
	buffer_wbinvl1_vol
	v_cmp_eq_u32_e32 vcc, 0, v1
	s_and_b64 vcc, vcc, exec
	s_or_b64 s[64:65], s[64:65], vcc
.LBB4_686:                              ;   in Loop: Header=BB4_684 Depth=4
	s_andn2_b64 s[62:63], s[62:63], exec
	s_and_b64 s[66:67], s[66:67], exec
	s_mov_b64 vcc, -1
	s_or_b64 s[62:63], s[62:63], s[66:67]
	s_and_saveexec_b64 s[66:67], s[64:65]
	s_cbranch_execz .LBB4_683
; %bb.687:                              ;   in Loop: Header=BB4_684 Depth=4
	s_sleep 1
	s_trap 2
	ds_read_b64 v[2:3], v0
	s_andn2_b64 s[62:63], s[62:63], exec
	s_waitcnt lgkmcnt(0)
	v_cmp_ge_u64_e32 vcc, v[2:3], v[34:35]
	s_orn2_b64 vcc, vcc, exec
	s_branch .LBB4_683
.LBB4_688:                              ;   in Loop: Header=BB4_549 Depth=3
	s_or_b64 exec, exec, s[58:59]
	s_and_saveexec_b64 vcc, s[60:61]
	s_xor_b64 vcc, exec, vcc
	s_cbranch_execz .LBB4_690
; %bb.689:                              ;   in Loop: Header=BB4_549 Depth=3
	ds_write_b32 v0, v46
	s_trap 2
.LBB4_690:                              ;   in Loop: Header=BB4_549 Depth=3
	s_or_b64 exec, exec, s[36:37]
	;;#ASMSTART
	s_wakeup
	;;#ASMEND
.LBB4_691:                              ;   in Loop: Header=BB4_549 Depth=3
	s_or_b64 exec, exec, s[34:35]
.LBB4_692:                              ;   in Loop: Header=BB4_549 Depth=3
	s_andn2_saveexec_b64 vcc, s[30:31]
	s_cbranch_execz .LBB4_694
; %bb.693:                              ;   in Loop: Header=BB4_549 Depth=3
	s_waitcnt vmcnt(0) lgkmcnt(0)
	buffer_wbinvl1_vol
	s_barrier
.LBB4_694:                              ;   in Loop: Header=BB4_549 Depth=3
	s_or_b64 exec, exec, vcc
.LBB4_695:                              ;   in Loop: Header=BB4_549 Depth=3
	s_or_b64 exec, exec, s[28:29]
                                        ; implicit-def: $vgpr1
	s_and_saveexec_b64 s[28:29], s[24:25]
	s_xor_b64 s[30:31], exec, s[28:29]
	s_cbranch_execz .LBB4_699
; %bb.696:                              ;   in Loop: Header=BB4_549 Depth=3
	v_and_b32_e32 v2, 16, v62
	v_cmp_lt_i32_e32 vcc, 0, v59
	v_cmp_ne_u32_e64 s[28:29], 0, v2
	v_and_b32_e32 v1, 16, v62
	s_and_b64 vcc, s[28:29], vcc
	s_and_saveexec_b64 s[28:29], vcc
	s_cbranch_execz .LBB4_698
; %bb.697:                              ;   in Loop: Header=BB4_549 Depth=3
	v_mov_b32_e32 v1, 1
	s_waitcnt vmcnt(0) lgkmcnt(0)
	buffer_wbinvl1_vol
.LBB4_698:                              ;   in Loop: Header=BB4_549 Depth=3
	s_or_b64 exec, exec, s[28:29]
	s_andn2_saveexec_b64 s[28:29], s[30:31]
	s_cbranch_execz .LBB4_718
	s_branch .LBB4_700
.LBB4_699:                              ;   in Loop: Header=BB4_549 Depth=3
	s_andn2_saveexec_b64 s[28:29], s[30:31]
	s_cbranch_execz .LBB4_718
.LBB4_700:                              ;   in Loop: Header=BB4_549 Depth=3
	s_and_saveexec_b64 vcc, s[46:47]
	s_xor_b64 s[30:31], exec, vcc
	s_cbranch_execz .LBB4_715
; %bb.701:                              ;   in Loop: Header=BB4_549 Depth=3
	s_and_saveexec_b64 s[34:35], s[16:17]
	s_cbranch_execz .LBB4_714
; %bb.702:                              ;   in Loop: Header=BB4_549 Depth=3
	s_mov_b64 s[58:59], exec
	v_mbcnt_lo_u32_b32 v1, s58, 0
	v_mbcnt_hi_u32_b32 v1, s59, v1
	v_cmp_eq_u32_e32 vcc, 0, v1
	;;#ASMSTART
	s_waitcnt lgkmcnt(0) vmcnt(0)
	;;#ASMEND
	s_and_saveexec_b64 s[36:37], vcc
	s_cbranch_execz .LBB4_704
; %bb.703:                              ;   in Loop: Header=BB4_549 Depth=3
	s_bcnt1_i32_b64 vcc_lo, s[58:59]
	v_mov_b32_e32 v48, vcc_lo
	ds_add_u64 v0, v[48:49]
	s_trap 2
.LBB4_704:                              ;   in Loop: Header=BB4_549 Depth=3
	s_or_b64 exec, exec, s[36:37]
	s_trap 2
	ds_read_b64 v[2:3], v0
	v_add_co_u32_e32 v34, vcc, v34, v50
	v_addc_co_u32_e32 v35, vcc, 0, v35, vcc
	s_waitcnt lgkmcnt(0)
	v_cmp_lt_u64_e32 vcc, v[2:3], v[34:35]
	s_and_saveexec_b64 s[36:37], vcc
	s_cbranch_execz .LBB4_713
; %bb.705:                              ;   in Loop: Header=BB4_549 Depth=3
	s_mov_b32 s76, 0
	s_mov_b64 s[58:59], 0
                                        ; implicit-def: $sgpr60_sgpr61
                                        ; implicit-def: $sgpr62_sgpr63
	s_branch .LBB4_707
.LBB4_706:                              ;   in Loop: Header=BB4_707 Depth=4
	s_or_b64 exec, exec, s[66:67]
	s_and_b64 vcc, exec, vcc
	s_or_b64 s[58:59], vcc, s[58:59]
	s_andn2_b64 vcc, s[60:61], exec
	s_and_b64 s[60:61], s[62:63], exec
	s_or_b64 s[60:61], vcc, s[60:61]
	s_andn2_b64 exec, exec, s[58:59]
	s_cbranch_execz .LBB4_711
.LBB4_707:                              ;   Parent Loop BB4_83 Depth=1
                                        ;     Parent Loop BB4_546 Depth=2
                                        ;       Parent Loop BB4_549 Depth=3
                                        ; =>      This Inner Loop Header: Depth=4
	s_add_i32 s76, s76, 1
	s_cmpk_lg_i32 s76, 0x2710
	s_cselect_b64 s[64:65], -1, 0
	s_and_b64 vcc, exec, s[64:65]
                                        ; implicit-def: $sgpr66_sgpr67
	s_cbranch_vccnz .LBB4_709
; %bb.708:                              ;   in Loop: Header=BB4_707 Depth=4
	s_trap 2
	ds_read_b64 v[2:3], v0
	s_andn2_b64 s[64:65], s[64:65], exec
	s_mov_b32 s76, 0
	s_mov_b64 s[66:67], -1
	s_waitcnt vmcnt(0) lgkmcnt(0)
	flat_load_dword v1, v[2:3] glc
	s_waitcnt vmcnt(0) lgkmcnt(0)
	buffer_invl2
	buffer_wbinvl1_vol
	v_cmp_eq_u32_e32 vcc, 0, v1
	s_and_b64 vcc, vcc, exec
	s_or_b64 s[64:65], s[64:65], vcc
.LBB4_709:                              ;   in Loop: Header=BB4_707 Depth=4
	s_andn2_b64 s[62:63], s[62:63], exec
	s_and_b64 s[66:67], s[66:67], exec
	s_mov_b64 vcc, -1
	s_or_b64 s[62:63], s[62:63], s[66:67]
	s_and_saveexec_b64 s[66:67], s[64:65]
	s_cbranch_execz .LBB4_706
; %bb.710:                              ;   in Loop: Header=BB4_707 Depth=4
	s_sleep 1
	s_trap 2
	ds_read_b64 v[2:3], v0
	s_andn2_b64 s[62:63], s[62:63], exec
	s_waitcnt lgkmcnt(0)
	v_cmp_ge_u64_e32 vcc, v[2:3], v[34:35]
	s_orn2_b64 vcc, vcc, exec
	s_branch .LBB4_706
.LBB4_711:                              ;   in Loop: Header=BB4_549 Depth=3
	s_or_b64 exec, exec, s[58:59]
	s_and_saveexec_b64 vcc, s[60:61]
	s_xor_b64 vcc, exec, vcc
	s_cbranch_execz .LBB4_713
; %bb.712:                              ;   in Loop: Header=BB4_549 Depth=3
	ds_write_b32 v0, v46
	s_trap 2
.LBB4_713:                              ;   in Loop: Header=BB4_549 Depth=3
	s_or_b64 exec, exec, s[36:37]
	;;#ASMSTART
	s_wakeup
	;;#ASMEND
.LBB4_714:                              ;   in Loop: Header=BB4_549 Depth=3
	s_or_b64 exec, exec, s[34:35]
.LBB4_715:                              ;   in Loop: Header=BB4_549 Depth=3
	s_andn2_saveexec_b64 vcc, s[30:31]
	s_cbranch_execz .LBB4_717
; %bb.716:                              ;   in Loop: Header=BB4_549 Depth=3
	;;#ASMSTART
	s_waitcnt lgkmcnt(0) vmcnt(0)
	;;#ASMEND
	s_barrier
.LBB4_717:                              ;   in Loop: Header=BB4_549 Depth=3
	s_or_b64 exec, exec, vcc
	v_and_b32_e32 v1, 16, v62
.LBB4_718:                              ;   in Loop: Header=BB4_549 Depth=3
	s_or_b64 exec, exec, s[28:29]
	v_cmp_ne_u32_e32 vcc, 0, v1
	s_xor_b64 s[28:29], s[12:13], -1
	s_and_b64 vcc, vcc, s[28:29]
	s_and_saveexec_b64 s[28:29], vcc
	s_cbranch_execz .LBB4_720
; %bb.719:                              ;   in Loop: Header=BB4_549 Depth=3
	flat_store_dword v[36:37], v46
.LBB4_720:                              ;   in Loop: Header=BB4_549 Depth=3
	s_or_b64 exec, exec, s[28:29]
	v_and_b32_e32 v1, 48, v62
	v_cmp_ne_u32_e32 vcc, 0, v1
	s_and_saveexec_b64 s[28:29], vcc
	s_cbranch_execz .LBB4_548
; %bb.721:                              ;   in Loop: Header=BB4_549 Depth=3
	v_add_co_u32_e32 v26, vcc, 2, v26
	v_addc_co_u32_e32 v27, vcc, 0, v27, vcc
	flat_store_dwordx2 v[28:29], v[26:27]
	s_branch .LBB4_548
.LBB4_722:                              ;   in Loop: Header=BB4_546 Depth=2
	s_or_b64 exec, exec, s[52:53]
	v_cmp_gt_i32_e32 vcc, 2, v1
	s_and_saveexec_b64 s[30:31], vcc
	s_cbranch_execz .LBB4_796
.LBB4_723:                              ;   in Loop: Header=BB4_546 Depth=2
	v_cmp_eq_u32_e64 s[28:29], 0, v1
	s_mov_b64 s[34:35], 0
	s_branch .LBB4_725
.LBB4_724:                              ;   in Loop: Header=BB4_725 Depth=3
	s_or_b64 exec, exec, s[28:29]
	v_add_u32_e32 v31, v58, v31
	s_mov_b64 s[28:29], 0
	s_andn2_b64 exec, exec, s[34:35]
	s_cbranch_execz .LBB4_797
.LBB4_725:                              ;   Parent Loop BB4_83 Depth=1
                                        ;     Parent Loop BB4_546 Depth=2
                                        ; =>    This Loop Header: Depth=3
                                        ;         Child Loop BB4_731 Depth 4
                                        ;         Child Loop BB4_769 Depth 4
	;; [unrolled: 1-line block ×3, first 2 shown]
	v_and_b32_e32 v1, 12, v62
	s_mov_b64 s[52:53], -1
	v_cmp_ne_u32_e32 vcc, 0, v1
	s_and_saveexec_b64 s[36:37], vcc
	s_cbranch_execz .LBB4_737
; %bb.726:                              ;   in Loop: Header=BB4_725 Depth=3
	v_and_b32_e32 v2, 8, v62
	v_add_co_u32_e32 v14, vcc, v38, v2
	v_addc_co_u32_e32 v15, vcc, 0, v39, vcc
	v_add_co_u32_e32 v4, vcc, 2, v26
	v_addc_co_u32_e32 v5, vcc, 0, v27, vcc
	v_cmp_lt_u64_e32 vcc, v[14:15], v[4:5]
	v_mov_b32_e32 v1, 1
	s_and_saveexec_b64 s[52:53], vcc
	s_cbranch_execz .LBB4_736
; %bb.727:                              ;   in Loop: Header=BB4_725 Depth=3
	s_mov_b64 s[54:55], 0
	v_mov_b32_e32 v1, 0
                                        ; implicit-def: $sgpr56_sgpr57
	s_branch .LBB4_731
.LBB4_728:                              ;   in Loop: Header=BB4_731 Depth=4
	s_or_b64 exec, exec, s[64:65]
	v_mov_b32_e32 v3, 0
	s_orn2_b64 s[62:63], s[62:63], exec
.LBB4_729:                              ;   in Loop: Header=BB4_731 Depth=4
	s_or_b64 exec, exec, s[60:61]
	s_andn2_b64 vcc, s[56:57], exec
	s_and_b64 s[56:57], s[62:63], exec
	s_or_b64 s[56:57], vcc, s[56:57]
	v_mov_b32_e32 v1, v3
.LBB4_730:                              ;   in Loop: Header=BB4_731 Depth=4
	s_or_b64 exec, exec, s[58:59]
	s_waitcnt vmcnt(0) lgkmcnt(0)
	v_add_co_u32_e32 v14, vcc, v38, v2
	v_addc_co_u32_e32 v15, vcc, 0, v39, vcc
	v_cmp_ge_u64_e32 vcc, v[14:15], v[4:5]
	s_xor_b64 s[58:59], s[56:57], -1
	s_or_b64 vcc, s[58:59], vcc
	s_and_b64 vcc, exec, vcc
	s_or_b64 s[54:55], vcc, s[54:55]
	s_andn2_b64 exec, exec, s[54:55]
	s_cbranch_execz .LBB4_735
.LBB4_731:                              ;   Parent Loop BB4_83 Depth=1
                                        ;     Parent Loop BB4_546 Depth=2
                                        ;       Parent Loop BB4_725 Depth=3
                                        ; =>      This Inner Loop Header: Depth=4
	s_sleep 1
	flat_load_dwordx2 v[38:39], v[28:29] glc
	v_and_b32_e32 v3, 64, v62
	v_cmp_eq_u32_e32 vcc, 0, v3
	s_andn2_b64 s[56:57], s[56:57], exec
	s_and_saveexec_b64 s[58:59], vcc
	s_cbranch_execz .LBB4_730
; %bb.732:                              ;   in Loop: Header=BB4_731 Depth=4
	v_add_u32_e32 v3, 1, v1
	v_cmp_lt_i32_e32 vcc, s72, v1
	s_mov_b64 s[62:63], -1
	s_and_saveexec_b64 s[60:61], vcc
	s_cbranch_execz .LBB4_729
; %bb.733:                              ;   in Loop: Header=BB4_731 Depth=4
	s_trap 2
	ds_read_b64 v[14:15], v0
	s_waitcnt vmcnt(0) lgkmcnt(0)
	flat_load_dword v1, v[14:15] glc
	s_waitcnt vmcnt(0) lgkmcnt(0)
	buffer_invl2
	buffer_wbinvl1_vol
	v_cmp_ne_u32_e32 vcc, 0, v1
	s_and_saveexec_b64 s[64:65], vcc
	s_cbranch_execz .LBB4_728
; %bb.734:                              ;   in Loop: Header=BB4_731 Depth=4
	v_or_b32_e32 v62, 64, v62
	s_xor_b64 s[62:63], exec, -1
	ds_write_b32 v0, v1
	s_trap 2
	s_branch .LBB4_728
.LBB4_735:                              ;   in Loop: Header=BB4_725 Depth=3
	s_or_b64 exec, exec, s[54:55]
	v_and_b32_e32 v1, 12, v62
.LBB4_736:                              ;   in Loop: Header=BB4_725 Depth=3
	s_or_b64 exec, exec, s[52:53]
	v_cmp_eq_u32_e32 vcc, 0, v1
	s_orn2_b64 s[52:53], vcc, exec
	;;#ASMSTART
	s_wakeup
	;;#ASMEND
.LBB4_737:                              ;   in Loop: Header=BB4_725 Depth=3
	s_or_b64 exec, exec, s[36:37]
	s_xor_b64 s[28:29], s[28:29], -1
	s_and_b64 s[28:29], exec, s[28:29]
	s_or_b64 s[34:35], s[28:29], s[34:35]
	v_sub_u32_e32 v1, v7, v31
	s_xor_b64 s[28:29], s[52:53], -1
	v_min_i32_e32 v58, v58, v1
	s_and_saveexec_b64 s[36:37], s[28:29]
	s_cbranch_execz .LBB4_761
; %bb.738:                              ;   in Loop: Header=BB4_725 Depth=3
	v_and_b32_e32 v1, 0x108, v62
	v_cmp_ne_u32_e32 vcc, s73, v1
	v_and_b32_e32 v2, 7, v26
	s_and_saveexec_b64 s[28:29], vcc
	s_xor_b64 s[28:29], exec, s[28:29]
	s_andn2_saveexec_b64 s[28:29], s[28:29]
	s_cbranch_execz .LBB4_740
; %bb.739:                              ;   in Loop: Header=BB4_725 Depth=3
	v_mad_u64_u32 v[4:5], vcc, v2, 24, v[12:13]
	v_ashrrev_i32_e32 v59, 31, v58
	flat_store_dwordx2 v[4:5], v[58:59] offset:8
.LBB4_740:                              ;   in Loop: Header=BB4_725 Depth=3
	s_or_b64 exec, exec, s[28:29]
	v_and_b32_e32 v1, 0x100, v62
	v_cmp_ne_u32_e32 vcc, 0, v1
	s_mov_b64 s[28:29], -1
                                        ; implicit-def: $vgpr4_vgpr5
	s_and_saveexec_b64 s[52:53], vcc
	s_cbranch_execz .LBB4_744
; %bb.741:                              ;   in Loop: Header=BB4_725 Depth=3
	v_mad_u64_u32 v[14:15], s[28:29], v2, 24, v[12:13]
	v_mov_b32_e32 v4, v15
	v_mad_u64_u32 v[4:5], s[28:29], v49, 24, v[4:5]
	v_mov_b32_e32 v15, v4
	flat_load_dword v1, v[14:15]
                                        ; implicit-def: $vgpr4_vgpr5
	s_waitcnt vmcnt(0) lgkmcnt(0)
	v_cmp_ne_u32_e32 vcc, 1, v1
	v_cmp_eq_u32_e64 s[28:29], 1, v1
	s_and_saveexec_b64 s[54:55], s[28:29]
	s_cbranch_execz .LBB4_743
; %bb.742:                              ;   in Loop: Header=BB4_725 Depth=3
	flat_load_dword v4, v[14:15] offset:4 glc
	s_waitcnt vmcnt(0) lgkmcnt(0)
	v_ashrrev_i32_e32 v5, 31, v4
.LBB4_743:                              ;   in Loop: Header=BB4_725 Depth=3
	s_or_b64 exec, exec, s[54:55]
	s_orn2_b64 s[28:29], vcc, exec
.LBB4_744:                              ;   in Loop: Header=BB4_725 Depth=3
	s_or_b64 exec, exec, s[52:53]
	s_and_saveexec_b64 vcc, s[28:29]
; %bb.745:                              ;   in Loop: Header=BB4_725 Depth=3
	v_accvgpr_read_b32 v3, a15
	v_mul_lo_u32 v1, v49, v30
	v_mul_lo_u32 v3, v2, v3
	v_mad_u64_u32 v[4:5], s[28:29], v2, v30, 0
	v_add3_u32 v5, v5, v3, v1
; %bb.746:                              ;   in Loop: Header=BB4_725 Depth=3
	s_or_b64 exec, exec, vcc
	v_add_co_u32_e32 v2, vcc, v32, v4
	v_addc_co_u32_e32 v3, vcc, v33, v5, vcc
	v_and_b32_e32 v1, 0x2000, v62
	v_cmp_ne_u32_e32 vcc, 0, v1
	s_trap 2
	ds_write_b64 v0, v[2:3]
	s_and_saveexec_b64 s[28:29], vcc
	s_cbranch_execz .LBB4_748
; %bb.747:                              ;   in Loop: Header=BB4_725 Depth=3
	ds_read_b64 v[2:3], v0 offset:584
	s_waitcnt lgkmcnt(0)
	v_add_co_u32_e32 v2, vcc, 1, v2
	v_addc_co_u32_e32 v3, vcc, 0, v3, vcc
	ds_write_b64 v0, v[2:3] offset:584
.LBB4_748:                              ;   in Loop: Header=BB4_725 Depth=3
	s_or_b64 exec, exec, s[28:29]
	v_add_co_u32_e32 v26, vcc, 2, v26
	v_addc_co_u32_e32 v27, vcc, 0, v27, vcc
	s_or_b64 exec, exec, s[36:37]
	s_and_saveexec_b64 s[28:29], s[10:11]
	s_cbranch_execnz .LBB4_762
.LBB4_749:                              ;   in Loop: Header=BB4_725 Depth=3
	s_or_b64 exec, exec, s[28:29]
                                        ; implicit-def: $vgpr1
	s_and_saveexec_b64 s[28:29], s[50:51]
	s_xor_b64 s[28:29], exec, s[28:29]
	s_cbranch_execz .LBB4_787
.LBB4_750:                              ;   in Loop: Header=BB4_725 Depth=3
	s_and_saveexec_b64 vcc, s[46:47]
	s_xor_b64 s[36:37], exec, vcc
	s_cbranch_execz .LBB4_777
; %bb.751:                              ;   in Loop: Header=BB4_725 Depth=3
	s_and_saveexec_b64 s[52:53], s[16:17]
	s_cbranch_execz .LBB4_776
; %bb.752:                              ;   in Loop: Header=BB4_725 Depth=3
	s_mov_b64 s[56:57], exec
	v_mbcnt_lo_u32_b32 v1, s56, 0
	v_mbcnt_hi_u32_b32 v1, s57, v1
	v_cmp_eq_u32_e32 vcc, 0, v1
	;;#ASMSTART
	s_waitcnt lgkmcnt(0) vmcnt(0)
	;;#ASMEND
	s_and_saveexec_b64 s[54:55], vcc
	s_cbranch_execz .LBB4_754
; %bb.753:                              ;   in Loop: Header=BB4_725 Depth=3
	s_bcnt1_i32_b64 vcc_lo, s[56:57]
	v_mov_b32_e32 v48, vcc_lo
	ds_add_u64 v0, v[48:49]
	s_trap 2
.LBB4_754:                              ;   in Loop: Header=BB4_725 Depth=3
	s_or_b64 exec, exec, s[54:55]
	s_trap 2
	ds_read_b64 v[2:3], v0
	v_add_co_u32_e32 v34, vcc, v34, v50
	v_addc_co_u32_e32 v35, vcc, 0, v35, vcc
	s_waitcnt lgkmcnt(0)
	v_cmp_lt_u64_e32 vcc, v[2:3], v[34:35]
	s_and_saveexec_b64 s[54:55], vcc
	s_cbranch_execz .LBB4_775
; %bb.755:                              ;   in Loop: Header=BB4_725 Depth=3
	s_mov_b32 s66, 0
	s_mov_b64 s[56:57], 0
                                        ; implicit-def: $sgpr58_sgpr59
                                        ; implicit-def: $sgpr60_sgpr61
	s_branch .LBB4_757
.LBB4_756:                              ;   in Loop: Header=BB4_757 Depth=4
	s_or_b64 exec, exec, s[64:65]
	s_and_b64 vcc, exec, vcc
	s_or_b64 s[56:57], vcc, s[56:57]
	s_andn2_b64 vcc, s[58:59], exec
	s_and_b64 s[58:59], s[60:61], exec
	s_or_b64 s[58:59], vcc, s[58:59]
	s_andn2_b64 exec, exec, s[56:57]
	s_cbranch_execz .LBB4_773
.LBB4_757:                              ;   Parent Loop BB4_83 Depth=1
                                        ;     Parent Loop BB4_546 Depth=2
                                        ;       Parent Loop BB4_725 Depth=3
                                        ; =>      This Inner Loop Header: Depth=4
	s_add_i32 s66, s66, 1
	s_cmpk_lg_i32 s66, 0x2710
	s_cselect_b64 s[62:63], -1, 0
	s_and_b64 vcc, exec, s[62:63]
                                        ; implicit-def: $sgpr64_sgpr65
	s_cbranch_vccnz .LBB4_759
; %bb.758:                              ;   in Loop: Header=BB4_757 Depth=4
	s_trap 2
	ds_read_b64 v[2:3], v0
	s_andn2_b64 s[62:63], s[62:63], exec
	s_mov_b32 s66, 0
	s_mov_b64 s[64:65], -1
	s_waitcnt vmcnt(0) lgkmcnt(0)
	flat_load_dword v1, v[2:3] glc
	s_waitcnt vmcnt(0) lgkmcnt(0)
	buffer_invl2
	buffer_wbinvl1_vol
	v_cmp_eq_u32_e32 vcc, 0, v1
	s_and_b64 vcc, vcc, exec
	s_or_b64 s[62:63], s[62:63], vcc
.LBB4_759:                              ;   in Loop: Header=BB4_757 Depth=4
	s_andn2_b64 s[60:61], s[60:61], exec
	s_and_b64 s[64:65], s[64:65], exec
	s_mov_b64 vcc, -1
	s_or_b64 s[60:61], s[60:61], s[64:65]
	s_and_saveexec_b64 s[64:65], s[62:63]
	s_cbranch_execz .LBB4_756
; %bb.760:                              ;   in Loop: Header=BB4_757 Depth=4
	s_sleep 1
	s_trap 2
	ds_read_b64 v[2:3], v0
	s_andn2_b64 s[60:61], s[60:61], exec
	s_waitcnt lgkmcnt(0)
	v_cmp_ge_u64_e32 vcc, v[2:3], v[34:35]
	s_orn2_b64 vcc, vcc, exec
	s_branch .LBB4_756
.LBB4_761:                              ;   in Loop: Header=BB4_725 Depth=3
	s_or_b64 exec, exec, s[36:37]
	s_and_saveexec_b64 s[28:29], s[10:11]
	s_cbranch_execz .LBB4_749
.LBB4_762:                              ;   in Loop: Header=BB4_725 Depth=3
	s_and_saveexec_b64 vcc, s[46:47]
	s_xor_b64 s[36:37], exec, vcc
	s_cbranch_execz .LBB4_784
; %bb.763:                              ;   in Loop: Header=BB4_725 Depth=3
	s_and_saveexec_b64 s[52:53], s[16:17]
	s_cbranch_execz .LBB4_783
; %bb.764:                              ;   in Loop: Header=BB4_725 Depth=3
	s_mov_b64 s[56:57], exec
	v_mbcnt_lo_u32_b32 v1, s56, 0
	v_mbcnt_hi_u32_b32 v1, s57, v1
	v_cmp_eq_u32_e32 vcc, 0, v1
	s_waitcnt vmcnt(0) lgkmcnt(0)
	buffer_wbinvl1_vol
	s_and_saveexec_b64 s[54:55], vcc
	s_cbranch_execz .LBB4_766
; %bb.765:                              ;   in Loop: Header=BB4_725 Depth=3
	s_bcnt1_i32_b64 vcc_lo, s[56:57]
	v_mov_b32_e32 v48, vcc_lo
	ds_add_u64 v0, v[48:49]
	s_trap 2
.LBB4_766:                              ;   in Loop: Header=BB4_725 Depth=3
	s_or_b64 exec, exec, s[54:55]
	s_trap 2
	ds_read_b64 v[2:3], v0
	v_add_co_u32_e32 v34, vcc, v34, v50
	v_addc_co_u32_e32 v35, vcc, 0, v35, vcc
	s_waitcnt lgkmcnt(0)
	v_cmp_lt_u64_e32 vcc, v[2:3], v[34:35]
	s_and_saveexec_b64 s[54:55], vcc
	s_cbranch_execz .LBB4_782
; %bb.767:                              ;   in Loop: Header=BB4_725 Depth=3
	s_mov_b32 s66, 0
	s_mov_b64 s[56:57], 0
                                        ; implicit-def: $sgpr58_sgpr59
                                        ; implicit-def: $sgpr60_sgpr61
	s_branch .LBB4_769
.LBB4_768:                              ;   in Loop: Header=BB4_769 Depth=4
	s_or_b64 exec, exec, s[64:65]
	s_and_b64 vcc, exec, vcc
	s_or_b64 s[56:57], vcc, s[56:57]
	s_andn2_b64 vcc, s[58:59], exec
	s_and_b64 s[58:59], s[60:61], exec
	s_or_b64 s[58:59], vcc, s[58:59]
	s_andn2_b64 exec, exec, s[56:57]
	s_cbranch_execz .LBB4_780
.LBB4_769:                              ;   Parent Loop BB4_83 Depth=1
                                        ;     Parent Loop BB4_546 Depth=2
                                        ;       Parent Loop BB4_725 Depth=3
                                        ; =>      This Inner Loop Header: Depth=4
	s_add_i32 s66, s66, 1
	s_cmpk_lg_i32 s66, 0x2710
	s_cselect_b64 s[62:63], -1, 0
	s_and_b64 vcc, exec, s[62:63]
                                        ; implicit-def: $sgpr64_sgpr65
	s_cbranch_vccnz .LBB4_771
; %bb.770:                              ;   in Loop: Header=BB4_769 Depth=4
	s_trap 2
	ds_read_b64 v[2:3], v0
	s_andn2_b64 s[62:63], s[62:63], exec
	s_mov_b32 s66, 0
	s_mov_b64 s[64:65], -1
	s_waitcnt lgkmcnt(0)
	flat_load_dword v1, v[2:3] glc
	s_waitcnt vmcnt(0) lgkmcnt(0)
	buffer_invl2
	buffer_wbinvl1_vol
	v_cmp_eq_u32_e32 vcc, 0, v1
	s_and_b64 vcc, vcc, exec
	s_or_b64 s[62:63], s[62:63], vcc
.LBB4_771:                              ;   in Loop: Header=BB4_769 Depth=4
	s_andn2_b64 s[60:61], s[60:61], exec
	s_and_b64 s[64:65], s[64:65], exec
	s_mov_b64 vcc, -1
	s_or_b64 s[60:61], s[60:61], s[64:65]
	s_and_saveexec_b64 s[64:65], s[62:63]
	s_cbranch_execz .LBB4_768
; %bb.772:                              ;   in Loop: Header=BB4_769 Depth=4
	s_sleep 1
	s_trap 2
	ds_read_b64 v[2:3], v0
	s_andn2_b64 s[60:61], s[60:61], exec
	s_waitcnt lgkmcnt(0)
	v_cmp_ge_u64_e32 vcc, v[2:3], v[34:35]
	s_orn2_b64 vcc, vcc, exec
	s_branch .LBB4_768
.LBB4_773:                              ;   in Loop: Header=BB4_725 Depth=3
	s_or_b64 exec, exec, s[56:57]
	s_and_saveexec_b64 vcc, s[58:59]
	s_xor_b64 vcc, exec, vcc
	s_cbranch_execz .LBB4_775
; %bb.774:                              ;   in Loop: Header=BB4_725 Depth=3
	ds_write_b32 v0, v46
	s_trap 2
.LBB4_775:                              ;   in Loop: Header=BB4_725 Depth=3
	s_or_b64 exec, exec, s[54:55]
	;;#ASMSTART
	s_wakeup
	;;#ASMEND
.LBB4_776:                              ;   in Loop: Header=BB4_725 Depth=3
	s_or_b64 exec, exec, s[52:53]
.LBB4_777:                              ;   in Loop: Header=BB4_725 Depth=3
	s_andn2_saveexec_b64 vcc, s[36:37]
	s_cbranch_execz .LBB4_779
; %bb.778:                              ;   in Loop: Header=BB4_725 Depth=3
	;;#ASMSTART
	s_waitcnt lgkmcnt(0) vmcnt(0)
	;;#ASMEND
	s_barrier
.LBB4_779:                              ;   in Loop: Header=BB4_725 Depth=3
	s_or_b64 exec, exec, vcc
	v_and_b32_e32 v1, 16, v62
	s_andn2_saveexec_b64 s[28:29], s[28:29]
	s_cbranch_execz .LBB4_791
	s_branch .LBB4_788
.LBB4_780:                              ;   in Loop: Header=BB4_725 Depth=3
	s_or_b64 exec, exec, s[56:57]
	s_and_saveexec_b64 vcc, s[58:59]
	s_xor_b64 vcc, exec, vcc
	s_cbranch_execz .LBB4_782
; %bb.781:                              ;   in Loop: Header=BB4_725 Depth=3
	ds_write_b32 v0, v46
	s_trap 2
.LBB4_782:                              ;   in Loop: Header=BB4_725 Depth=3
	s_or_b64 exec, exec, s[54:55]
	;;#ASMSTART
	s_wakeup
	;;#ASMEND
.LBB4_783:                              ;   in Loop: Header=BB4_725 Depth=3
	s_or_b64 exec, exec, s[52:53]
.LBB4_784:                              ;   in Loop: Header=BB4_725 Depth=3
	s_andn2_saveexec_b64 vcc, s[36:37]
	s_cbranch_execz .LBB4_786
; %bb.785:                              ;   in Loop: Header=BB4_725 Depth=3
	s_waitcnt vmcnt(0) lgkmcnt(0)
	buffer_wbinvl1_vol
	s_barrier
.LBB4_786:                              ;   in Loop: Header=BB4_725 Depth=3
	s_or_b64 exec, exec, vcc
	s_or_b64 exec, exec, s[28:29]
                                        ; implicit-def: $vgpr1
	s_and_saveexec_b64 s[28:29], s[50:51]
	s_xor_b64 s[28:29], exec, s[28:29]
	s_cbranch_execnz .LBB4_750
.LBB4_787:                              ;   in Loop: Header=BB4_725 Depth=3
	s_andn2_saveexec_b64 s[28:29], s[28:29]
	s_cbranch_execz .LBB4_791
.LBB4_788:                              ;   in Loop: Header=BB4_725 Depth=3
	s_trap 2
	ds_read_b32 v2, v0
	v_cmp_lt_i32_e32 vcc, 0, v58
	v_and_b32_e32 v3, 16, v62
	v_and_b32_e32 v1, 16, v62
	s_waitcnt lgkmcnt(0)
	v_readfirstlane_b32 s36, v2
	s_cmp_eq_u32 s36, 0
	s_cselect_b64 s[36:37], -1, 0
	s_and_b64 s[36:37], vcc, s[36:37]
	v_cmp_ne_u32_e32 vcc, 0, v3
	s_and_b64 s[36:37], vcc, s[36:37]
	s_and_saveexec_b64 vcc, s[36:37]
	s_cbranch_execz .LBB4_790
; %bb.789:                              ;   in Loop: Header=BB4_725 Depth=3
	v_mov_b32_e32 v1, 1
	s_waitcnt vmcnt(0)
	buffer_wbinvl1_vol
.LBB4_790:                              ;   in Loop: Header=BB4_725 Depth=3
	s_or_b64 exec, exec, vcc
.LBB4_791:                              ;   in Loop: Header=BB4_725 Depth=3
	s_or_b64 exec, exec, s[28:29]
	v_cmp_ne_u32_e32 vcc, 0, v1
	s_xor_b64 s[28:29], s[12:13], -1
	s_and_b64 vcc, vcc, s[28:29]
	s_and_saveexec_b64 s[28:29], vcc
	s_cbranch_execz .LBB4_793
; %bb.792:                              ;   in Loop: Header=BB4_725 Depth=3
	flat_store_dword v[36:37], v46
.LBB4_793:                              ;   in Loop: Header=BB4_725 Depth=3
	s_or_b64 exec, exec, s[28:29]
	v_and_b32_e32 v1, 48, v62
	v_cmp_ne_u32_e32 vcc, 0, v1
	s_and_saveexec_b64 s[28:29], vcc
	s_cbranch_execz .LBB4_724
; %bb.794:                              ;   in Loop: Header=BB4_725 Depth=3
	v_add_co_u32_e32 v26, vcc, 2, v26
	v_addc_co_u32_e32 v27, vcc, 0, v27, vcc
	flat_store_dwordx2 v[28:29], v[26:27]
	s_branch .LBB4_724
.LBB4_795:                              ;   in Loop: Header=BB4_546 Depth=2
	s_or_b64 exec, exec, s[54:55]
	s_or_b64 exec, exec, s[52:53]
	v_cmp_gt_i32_e32 vcc, 2, v1
	s_and_saveexec_b64 s[30:31], vcc
	s_cbranch_execnz .LBB4_723
.LBB4_796:                              ;   in Loop: Header=BB4_546 Depth=2
	s_or_b64 exec, exec, s[30:31]
	s_add_i32 s28, s68, 1
	s_cmp_eq_u32 s68, s75
	s_cbranch_scc0 .LBB4_798
	s_branch .LBB4_799
.LBB4_797:                              ;   in Loop: Header=BB4_546 Depth=2
	s_or_b64 exec, exec, s[34:35]
	s_or_b64 exec, exec, s[30:31]
	s_add_i32 s28, s68, 1
	s_cmp_eq_u32 s68, s75
	s_cbranch_scc1 .LBB4_799
.LBB4_798:                              ;   in Loop: Header=BB4_546 Depth=2
	s_mov_b32 s68, s28
	s_branch .LBB4_546
.LBB4_799:                              ;   in Loop: Header=BB4_83 Depth=1
	v_accvgpr_read_b32 v55, a21
	v_accvgpr_read_b32 v54, a20
	v_mov_b32_e32 v1, 0
	v_mov_b32_e32 v22, 0
	s_and_saveexec_b64 s[28:29], s[26:27]
	s_cbranch_execnz .LBB4_804
.LBB4_800:                              ;   in Loop: Header=BB4_83 Depth=1
	s_or_b64 exec, exec, s[28:29]
	v_cmp_gt_i32_e32 vcc, 2, v1
	s_and_saveexec_b64 s[28:29], vcc
	s_cbranch_execz .LBB4_82
	s_branch .LBB4_941
.LBB4_801:                              ;   in Loop: Header=BB4_83 Depth=1
	s_or_b64 exec, exec, s[36:37]
.LBB4_802:                              ;   in Loop: Header=BB4_83 Depth=1
	s_or_b64 exec, exec, s[34:35]
	s_or_b64 exec, exec, s[30:31]
	s_andn2_b64 vcc, exec, s[48:49]
	s_cbranch_vccz .LBB4_545
.LBB4_803:                              ;   in Loop: Header=BB4_83 Depth=1
	v_mov_b32_e32 v1, 0
	v_mov_b32_e32 v22, 0
	s_and_saveexec_b64 s[28:29], s[26:27]
	s_cbranch_execz .LBB4_800
.LBB4_804:                              ;   in Loop: Header=BB4_83 Depth=1
	v_accvgpr_read_b32 v2, a4
	v_accvgpr_read_b32 v3, a5
	flat_load_dword v1, v[2:3] offset:4
	v_accvgpr_read_b32 v2, a28
	v_accvgpr_read_b32 v5, a9
	;; [unrolled: 1-line block ×4, first 2 shown]
	s_mov_b32 s66, 1
	s_mov_b64 s[34:35], -1
	s_mov_b64 s[30:31], 0
	v_mov_b32_e32 v22, 0
	s_waitcnt vmcnt(0) lgkmcnt(0)
	v_ashrrev_i32_e32 v4, 31, v1
	v_mad_u64_u32 v[2:3], s[26:27], v5, v1, v[2:3]
	v_mul_lo_u32 v1, v9, v1
	v_mul_lo_u32 v4, v5, v4
	v_add3_u32 v3, v1, v3, v4
	s_branch .LBB4_806
.LBB4_805:                              ;   in Loop: Header=BB4_806 Depth=2
	s_or_b64 exec, exec, s[26:27]
	v_add_u32_e32 v22, v24, v22
	v_cmp_ge_i32_e32 vcc, v22, v7
	s_xor_b64 s[26:27], s[34:35], -1
	s_or_b64 s[26:27], s[26:27], vcc
	s_and_b64 s[26:27], exec, s[26:27]
	s_or_b64 s[30:31], s[26:27], s[30:31]
	s_mov_b64 s[34:35], 0
	v_mov_b32_e32 v1, s66
	s_mov_b32 s66, 2
	s_andn2_b64 exec, exec, s[30:31]
	s_cbranch_execz .LBB4_940
.LBB4_806:                              ;   Parent Loop BB4_83 Depth=1
                                        ; =>  This Loop Header: Depth=2
                                        ;       Child Loop BB4_814 Depth 3
                                        ;       Child Loop BB4_838 Depth 3
	;; [unrolled: 1-line block ×9, first 2 shown]
	s_and_saveexec_b64 s[26:27], s[4:5]
	s_cbranch_execz .LBB4_808
; %bb.807:                              ;   in Loop: Header=BB4_806 Depth=2
	s_trap 2
	ds_read_b128 v[14:17], v0
	v_ashrrev_i32_e32 v9, 31, v22
	s_waitcnt lgkmcnt(0)
	v_add_co_u32_e32 v1, vcc, v14, v2
	v_addc_co_u32_e32 v5, vcc, v15, v3, vcc
	v_add_co_u32_e32 v4, vcc, v1, v22
	v_addc_co_u32_e32 v5, vcc, v5, v9, vcc
	v_add_co_u32_e32 v1, vcc, v16, v2
	ds_write_b64 v0, v[4:5]
	v_addc_co_u32_e32 v4, vcc, v17, v3, vcc
	v_add_co_u32_e32 v1, vcc, v1, v22
	v_addc_co_u32_e32 v4, vcc, v4, v9, vcc
	v_cmp_ne_u64_e32 vcc, 0, v[16:17]
	v_cndmask_b32_e32 v5, 0, v4, vcc
	v_cndmask_b32_e32 v4, 0, v1, vcc
	ds_write_b64 v0, v[4:5]
.LBB4_808:                              ;   in Loop: Header=BB4_806 Depth=2
	s_or_b64 exec, exec, s[26:27]
	v_and_b32_e32 v1, 4, v62
	v_cmp_ne_u32_e32 vcc, 0, v1
	s_mov_b64 s[36:37], -1
	s_and_saveexec_b64 s[26:27], vcc
	s_cbranch_execz .LBB4_818
; %bb.809:                              ;   in Loop: Header=BB4_806 Depth=2
	v_add_co_u32_e32 v4, vcc, 2, v26
	v_addc_co_u32_e32 v5, vcc, 0, v27, vcc
	v_cmp_lt_u64_e32 vcc, v[38:39], v[4:5]
	v_mov_b32_e32 v1, 1
	s_and_saveexec_b64 s[36:37], vcc
	s_cbranch_execz .LBB4_829
; %bb.810:                              ;   in Loop: Header=BB4_806 Depth=2
	s_mov_b64 s[52:53], 0
	v_mov_b32_e32 v1, 0
                                        ; implicit-def: $sgpr54_sgpr55
	s_branch .LBB4_814
.LBB4_811:                              ;   in Loop: Header=BB4_814 Depth=3
	s_or_b64 exec, exec, s[62:63]
	v_mov_b32_e32 v9, 0
	s_orn2_b64 s[60:61], s[60:61], exec
.LBB4_812:                              ;   in Loop: Header=BB4_814 Depth=3
	s_or_b64 exec, exec, s[58:59]
	s_andn2_b64 vcc, s[54:55], exec
	s_and_b64 s[54:55], s[60:61], exec
	s_or_b64 s[54:55], vcc, s[54:55]
	v_mov_b32_e32 v1, v9
.LBB4_813:                              ;   in Loop: Header=BB4_814 Depth=3
	s_or_b64 exec, exec, s[56:57]
	s_waitcnt vmcnt(0) lgkmcnt(0)
	v_cmp_ge_u64_e32 vcc, v[38:39], v[4:5]
	s_xor_b64 s[56:57], s[54:55], -1
	s_or_b64 vcc, s[56:57], vcc
	s_and_b64 vcc, exec, vcc
	s_or_b64 s[52:53], vcc, s[52:53]
	s_andn2_b64 exec, exec, s[52:53]
	s_cbranch_execz .LBB4_828
.LBB4_814:                              ;   Parent Loop BB4_83 Depth=1
                                        ;     Parent Loop BB4_806 Depth=2
                                        ; =>    This Inner Loop Header: Depth=3
	s_sleep 1
	flat_load_dwordx2 v[38:39], v[28:29] glc
	v_and_b32_e32 v9, 64, v62
	v_cmp_eq_u32_e32 vcc, 0, v9
	s_andn2_b64 s[54:55], s[54:55], exec
	s_and_saveexec_b64 s[56:57], vcc
	s_cbranch_execz .LBB4_813
; %bb.815:                              ;   in Loop: Header=BB4_814 Depth=3
	v_add_u32_e32 v9, 1, v1
	v_cmp_lt_i32_e32 vcc, s72, v1
	s_mov_b64 s[60:61], -1
	s_and_saveexec_b64 s[58:59], vcc
	s_cbranch_execz .LBB4_812
; %bb.816:                              ;   in Loop: Header=BB4_814 Depth=3
	s_trap 2
	ds_read_b64 v[14:15], v0
	s_waitcnt vmcnt(0) lgkmcnt(0)
	flat_load_dword v1, v[14:15] glc
	s_waitcnt vmcnt(0) lgkmcnt(0)
	buffer_invl2
	buffer_wbinvl1_vol
	v_cmp_ne_u32_e32 vcc, 0, v1
	s_and_saveexec_b64 s[62:63], vcc
	s_cbranch_execz .LBB4_811
; %bb.817:                              ;   in Loop: Header=BB4_814 Depth=3
	v_or_b32_e32 v62, 64, v62
	s_xor_b64 s[60:61], exec, -1
	ds_write_b32 v0, v1
	s_trap 2
	s_branch .LBB4_811
.LBB4_818:                              ;   in Loop: Header=BB4_806 Depth=2
	s_or_b64 exec, exec, s[26:27]
	s_xor_b64 s[26:27], s[36:37], -1
	s_and_saveexec_b64 s[36:37], s[26:27]
	s_cbranch_execz .LBB4_830
.LBB4_819:                              ;   in Loop: Header=BB4_806 Depth=2
	v_and_b32_e32 v1, 0x100, v62
	v_cmp_ne_u32_e32 vcc, 0, v1
	v_and_b32_e32 v1, 7, v26
	s_mov_b64 s[26:27], -1
                                        ; implicit-def: $vgpr4_vgpr5
	s_and_saveexec_b64 s[52:53], vcc
	s_cbranch_execz .LBB4_823
; %bb.820:                              ;   in Loop: Header=BB4_806 Depth=2
	v_mad_u64_u32 v[14:15], s[26:27], v1, 24, v[12:13]
	flat_load_dword v4, v[14:15]
	s_waitcnt vmcnt(0) lgkmcnt(0)
	v_cmp_ne_u32_e32 vcc, 1, v4
	v_cmp_eq_u32_e64 s[26:27], 1, v4
                                        ; implicit-def: $vgpr4_vgpr5
	s_and_saveexec_b64 s[54:55], s[26:27]
	s_cbranch_execz .LBB4_822
; %bb.821:                              ;   in Loop: Header=BB4_806 Depth=2
	flat_load_dword v4, v[14:15] offset:4 glc
	s_waitcnt vmcnt(0) lgkmcnt(0)
	v_ashrrev_i32_e32 v5, 31, v4
.LBB4_822:                              ;   in Loop: Header=BB4_806 Depth=2
	s_or_b64 exec, exec, s[54:55]
	s_orn2_b64 s[26:27], vcc, exec
.LBB4_823:                              ;   in Loop: Header=BB4_806 Depth=2
	s_or_b64 exec, exec, s[52:53]
	s_and_saveexec_b64 vcc, s[26:27]
; %bb.824:                              ;   in Loop: Header=BB4_806 Depth=2
	v_mad_i64_i32 v[4:5], s[26:27], v1, v30, 0
; %bb.825:                              ;   in Loop: Header=BB4_806 Depth=2
	s_or_b64 exec, exec, vcc
	v_add_co_u32_e32 v4, vcc, v32, v4
	v_addc_co_u32_e32 v5, vcc, v33, v5, vcc
	v_and_b32_e32 v1, 0x2000, v62
	v_cmp_ne_u32_e32 vcc, 0, v1
	ds_write_b64 v0, v[4:5] offset:720
	s_and_saveexec_b64 s[26:27], vcc
	s_cbranch_execz .LBB4_827
; %bb.826:                              ;   in Loop: Header=BB4_806 Depth=2
	ds_read_b64 v[4:5], v0 offset:584
	s_waitcnt lgkmcnt(0)
	v_add_co_u32_e32 v4, vcc, 1, v4
	v_addc_co_u32_e32 v5, vcc, 0, v5, vcc
	ds_write_b64 v0, v[4:5] offset:584
.LBB4_827:                              ;   in Loop: Header=BB4_806 Depth=2
	s_or_b64 exec, exec, s[26:27]
	v_add_co_u32_e32 v26, vcc, 2, v26
	v_addc_co_u32_e32 v27, vcc, 0, v27, vcc
	s_or_b64 exec, exec, s[36:37]
	s_and_saveexec_b64 s[26:27], s[10:11]
	s_cbranch_execz .LBB4_849
	s_branch .LBB4_831
.LBB4_828:                              ;   in Loop: Header=BB4_806 Depth=2
	s_or_b64 exec, exec, s[52:53]
	v_and_b32_e32 v1, 4, v62
.LBB4_829:                              ;   in Loop: Header=BB4_806 Depth=2
	s_or_b64 exec, exec, s[36:37]
	v_cmp_eq_u32_e32 vcc, 0, v1
	s_orn2_b64 s[36:37], vcc, exec
	;;#ASMSTART
	s_wakeup
	;;#ASMEND
	s_or_b64 exec, exec, s[26:27]
	s_xor_b64 s[26:27], s[36:37], -1
	s_and_saveexec_b64 s[36:37], s[26:27]
	s_cbranch_execnz .LBB4_819
.LBB4_830:                              ;   in Loop: Header=BB4_806 Depth=2
	s_or_b64 exec, exec, s[36:37]
	s_and_saveexec_b64 s[26:27], s[10:11]
	s_cbranch_execz .LBB4_849
.LBB4_831:                              ;   in Loop: Header=BB4_806 Depth=2
	s_and_saveexec_b64 vcc, s[46:47]
	s_xor_b64 s[36:37], exec, vcc
	s_cbranch_execz .LBB4_846
; %bb.832:                              ;   in Loop: Header=BB4_806 Depth=2
	s_and_saveexec_b64 s[52:53], s[16:17]
	s_cbranch_execz .LBB4_845
; %bb.833:                              ;   in Loop: Header=BB4_806 Depth=2
	s_mov_b64 s[56:57], exec
	v_mbcnt_lo_u32_b32 v1, s56, 0
	v_mbcnt_hi_u32_b32 v1, s57, v1
	v_cmp_eq_u32_e32 vcc, 0, v1
	s_waitcnt vmcnt(0) lgkmcnt(0)
	buffer_wbinvl1_vol
	s_and_saveexec_b64 s[54:55], vcc
	s_cbranch_execz .LBB4_835
; %bb.834:                              ;   in Loop: Header=BB4_806 Depth=2
	s_bcnt1_i32_b64 vcc_lo, s[56:57]
	v_mov_b32_e32 v48, vcc_lo
	ds_add_u64 v0, v[48:49]
	s_trap 2
.LBB4_835:                              ;   in Loop: Header=BB4_806 Depth=2
	s_or_b64 exec, exec, s[54:55]
	s_trap 2
	ds_read_b64 v[4:5], v0
	v_add_co_u32_e32 v34, vcc, v34, v50
	v_addc_co_u32_e32 v35, vcc, 0, v35, vcc
	s_waitcnt lgkmcnt(0)
	v_cmp_lt_u64_e32 vcc, v[4:5], v[34:35]
	s_and_saveexec_b64 s[54:55], vcc
	s_cbranch_execz .LBB4_844
; %bb.836:                              ;   in Loop: Header=BB4_806 Depth=2
	s_mov_b32 s67, 0
	s_mov_b64 s[56:57], 0
                                        ; implicit-def: $sgpr58_sgpr59
                                        ; implicit-def: $sgpr60_sgpr61
	s_branch .LBB4_838
.LBB4_837:                              ;   in Loop: Header=BB4_838 Depth=3
	s_or_b64 exec, exec, s[64:65]
	s_and_b64 vcc, exec, vcc
	s_or_b64 s[56:57], vcc, s[56:57]
	s_andn2_b64 vcc, s[58:59], exec
	s_and_b64 s[58:59], s[60:61], exec
	s_or_b64 s[58:59], vcc, s[58:59]
	s_andn2_b64 exec, exec, s[56:57]
	s_cbranch_execz .LBB4_842
.LBB4_838:                              ;   Parent Loop BB4_83 Depth=1
                                        ;     Parent Loop BB4_806 Depth=2
                                        ; =>    This Inner Loop Header: Depth=3
	s_add_i32 s67, s67, 1
	s_cmpk_lg_i32 s67, 0x2710
	s_cselect_b64 s[62:63], -1, 0
	s_and_b64 vcc, exec, s[62:63]
                                        ; implicit-def: $sgpr64_sgpr65
	s_cbranch_vccnz .LBB4_840
; %bb.839:                              ;   in Loop: Header=BB4_838 Depth=3
	s_trap 2
	ds_read_b64 v[4:5], v0
	s_andn2_b64 s[62:63], s[62:63], exec
	s_mov_b32 s67, 0
	s_mov_b64 s[64:65], -1
	s_waitcnt lgkmcnt(0)
	flat_load_dword v1, v[4:5] glc
	s_waitcnt vmcnt(0) lgkmcnt(0)
	buffer_invl2
	buffer_wbinvl1_vol
	v_cmp_eq_u32_e32 vcc, 0, v1
	s_and_b64 vcc, vcc, exec
	s_or_b64 s[62:63], s[62:63], vcc
.LBB4_840:                              ;   in Loop: Header=BB4_838 Depth=3
	s_andn2_b64 s[60:61], s[60:61], exec
	s_and_b64 s[64:65], s[64:65], exec
	s_mov_b64 vcc, -1
	s_or_b64 s[60:61], s[60:61], s[64:65]
	s_and_saveexec_b64 s[64:65], s[62:63]
	s_cbranch_execz .LBB4_837
; %bb.841:                              ;   in Loop: Header=BB4_838 Depth=3
	s_sleep 1
	s_trap 2
	ds_read_b64 v[4:5], v0
	s_andn2_b64 s[60:61], s[60:61], exec
	s_waitcnt lgkmcnt(0)
	v_cmp_ge_u64_e32 vcc, v[4:5], v[34:35]
	s_orn2_b64 vcc, vcc, exec
	s_branch .LBB4_837
.LBB4_842:                              ;   in Loop: Header=BB4_806 Depth=2
	s_or_b64 exec, exec, s[56:57]
	s_and_saveexec_b64 vcc, s[58:59]
	s_xor_b64 vcc, exec, vcc
	s_cbranch_execz .LBB4_844
; %bb.843:                              ;   in Loop: Header=BB4_806 Depth=2
	ds_write_b32 v0, v46
	s_trap 2
.LBB4_844:                              ;   in Loop: Header=BB4_806 Depth=2
	s_or_b64 exec, exec, s[54:55]
	;;#ASMSTART
	s_wakeup
	;;#ASMEND
.LBB4_845:                              ;   in Loop: Header=BB4_806 Depth=2
	s_or_b64 exec, exec, s[52:53]
.LBB4_846:                              ;   in Loop: Header=BB4_806 Depth=2
	s_andn2_saveexec_b64 vcc, s[36:37]
	s_cbranch_execz .LBB4_848
; %bb.847:                              ;   in Loop: Header=BB4_806 Depth=2
	s_waitcnt vmcnt(0) lgkmcnt(0)
	buffer_wbinvl1_vol
	s_barrier
.LBB4_848:                              ;   in Loop: Header=BB4_806 Depth=2
	s_or_b64 exec, exec, vcc
.LBB4_849:                              ;   in Loop: Header=BB4_806 Depth=2
	s_or_b64 exec, exec, s[26:27]
	s_trap 2
	ds_read_b32 v4, v0
	v_and_b32_e32 v1, 0x4000, v62
	v_cmp_ne_u32_e32 vcc, 0, v1
	s_xor_b64 s[26:27], s[6:7], -1
	s_and_b64 vcc, s[26:27], vcc
	s_and_saveexec_b64 s[26:27], vcc
	s_cbranch_execz .LBB4_868
; %bb.850:                              ;   in Loop: Header=BB4_806 Depth=2
	s_and_saveexec_b64 vcc, s[46:47]
	s_xor_b64 s[36:37], exec, vcc
	s_cbranch_execz .LBB4_865
; %bb.851:                              ;   in Loop: Header=BB4_806 Depth=2
	s_and_saveexec_b64 s[52:53], s[16:17]
	s_cbranch_execz .LBB4_864
; %bb.852:                              ;   in Loop: Header=BB4_806 Depth=2
	s_mov_b64 s[56:57], exec
	v_mbcnt_lo_u32_b32 v1, s56, 0
	v_mbcnt_hi_u32_b32 v1, s57, v1
	v_cmp_eq_u32_e32 vcc, 0, v1
	s_waitcnt vmcnt(0) lgkmcnt(0)
	buffer_wbinvl1_vol
	s_and_saveexec_b64 s[54:55], vcc
	s_cbranch_execz .LBB4_854
; %bb.853:                              ;   in Loop: Header=BB4_806 Depth=2
	s_bcnt1_i32_b64 vcc_lo, s[56:57]
	v_mov_b32_e32 v48, vcc_lo
	ds_add_u64 v0, v[48:49]
	s_trap 2
.LBB4_854:                              ;   in Loop: Header=BB4_806 Depth=2
	s_or_b64 exec, exec, s[54:55]
	s_trap 2
	ds_read_b64 v[14:15], v0
	v_add_co_u32_e32 v34, vcc, v34, v50
	v_addc_co_u32_e32 v35, vcc, 0, v35, vcc
	s_waitcnt lgkmcnt(0)
	v_cmp_lt_u64_e32 vcc, v[14:15], v[34:35]
	s_and_saveexec_b64 s[54:55], vcc
	s_cbranch_execz .LBB4_863
; %bb.855:                              ;   in Loop: Header=BB4_806 Depth=2
	s_mov_b32 s67, 0
	s_mov_b64 s[56:57], 0
                                        ; implicit-def: $sgpr58_sgpr59
                                        ; implicit-def: $sgpr60_sgpr61
	s_branch .LBB4_857
.LBB4_856:                              ;   in Loop: Header=BB4_857 Depth=3
	s_or_b64 exec, exec, s[64:65]
	s_and_b64 vcc, exec, vcc
	s_or_b64 s[56:57], vcc, s[56:57]
	s_andn2_b64 vcc, s[58:59], exec
	s_and_b64 s[58:59], s[60:61], exec
	s_or_b64 s[58:59], vcc, s[58:59]
	s_andn2_b64 exec, exec, s[56:57]
	s_cbranch_execz .LBB4_861
.LBB4_857:                              ;   Parent Loop BB4_83 Depth=1
                                        ;     Parent Loop BB4_806 Depth=2
                                        ; =>    This Inner Loop Header: Depth=3
	s_add_i32 s67, s67, 1
	s_cmpk_lg_i32 s67, 0x2710
	s_cselect_b64 s[62:63], -1, 0
	s_and_b64 vcc, exec, s[62:63]
                                        ; implicit-def: $sgpr64_sgpr65
	s_cbranch_vccnz .LBB4_859
; %bb.858:                              ;   in Loop: Header=BB4_857 Depth=3
	s_trap 2
	ds_read_b64 v[14:15], v0
	s_andn2_b64 s[62:63], s[62:63], exec
	s_mov_b32 s67, 0
	s_mov_b64 s[64:65], -1
	s_waitcnt lgkmcnt(0)
	flat_load_dword v1, v[14:15] glc
	s_waitcnt vmcnt(0) lgkmcnt(0)
	buffer_invl2
	buffer_wbinvl1_vol
	v_cmp_eq_u32_e32 vcc, 0, v1
	s_and_b64 vcc, vcc, exec
	s_or_b64 s[62:63], s[62:63], vcc
.LBB4_859:                              ;   in Loop: Header=BB4_857 Depth=3
	s_andn2_b64 s[60:61], s[60:61], exec
	s_and_b64 s[64:65], s[64:65], exec
	s_mov_b64 vcc, -1
	s_or_b64 s[60:61], s[60:61], s[64:65]
	s_and_saveexec_b64 s[64:65], s[62:63]
	s_cbranch_execz .LBB4_856
; %bb.860:                              ;   in Loop: Header=BB4_857 Depth=3
	s_sleep 1
	s_trap 2
	ds_read_b64 v[14:15], v0
	s_andn2_b64 s[60:61], s[60:61], exec
	s_waitcnt lgkmcnt(0)
	v_cmp_ge_u64_e32 vcc, v[14:15], v[34:35]
	s_orn2_b64 vcc, vcc, exec
	s_branch .LBB4_856
.LBB4_861:                              ;   in Loop: Header=BB4_806 Depth=2
	s_or_b64 exec, exec, s[56:57]
	s_and_saveexec_b64 vcc, s[58:59]
	s_xor_b64 vcc, exec, vcc
	s_cbranch_execz .LBB4_863
; %bb.862:                              ;   in Loop: Header=BB4_806 Depth=2
	ds_write_b32 v0, v46
	s_trap 2
.LBB4_863:                              ;   in Loop: Header=BB4_806 Depth=2
	s_or_b64 exec, exec, s[54:55]
	;;#ASMSTART
	s_wakeup
	;;#ASMEND
.LBB4_864:                              ;   in Loop: Header=BB4_806 Depth=2
	s_or_b64 exec, exec, s[52:53]
.LBB4_865:                              ;   in Loop: Header=BB4_806 Depth=2
	s_andn2_saveexec_b64 vcc, s[36:37]
	s_cbranch_execz .LBB4_867
; %bb.866:                              ;   in Loop: Header=BB4_806 Depth=2
	s_waitcnt vmcnt(0) lgkmcnt(0)
	buffer_wbinvl1_vol
	s_barrier
.LBB4_867:                              ;   in Loop: Header=BB4_806 Depth=2
	s_or_b64 exec, exec, vcc
.LBB4_868:                              ;   in Loop: Header=BB4_806 Depth=2
	s_or_b64 exec, exec, s[26:27]
	s_trap 2
	ds_read_b64 v[14:15], v0
	v_sub_u32_e32 v1, v7, v22
	v_min_i32_e32 v24, v24, v1
	v_mov_b32_e32 v23, 0
	s_waitcnt lgkmcnt(0)
	v_readfirstlane_b32 s26, v14
	v_readfirstlane_b32 s27, v15
	s_cmp_eq_u64 s[26:27], 0
	s_cselect_b64 s[26:27], -1, 0
	s_or_b64 s[26:27], s[26:27], s[26:27]
	s_and_b64 vcc, exec, s[26:27]
	s_cbranch_vccnz .LBB4_884
; %bb.869:                              ;   in Loop: Header=BB4_806 Depth=2
	s_mov_b64 s[26:27], -1
	s_and_saveexec_b64 s[36:37], s[22:23]
	s_cbranch_execz .LBB4_871
; %bb.870:                              ;   in Loop: Header=BB4_806 Depth=2
	ds_read_b32 v1, v0 offset:720
	s_waitcnt lgkmcnt(0)
	v_and_b32_e32 v1, 15, v1
	v_cmp_eq_u32_e32 vcc, 0, v1
	s_orn2_b64 s[26:27], vcc, exec
.LBB4_871:                              ;   in Loop: Header=BB4_806 Depth=2
	s_or_b64 exec, exec, s[36:37]
	s_and_saveexec_b64 s[36:37], s[18:19]
	s_cbranch_execz .LBB4_873
; %bb.872:                              ;   in Loop: Header=BB4_806 Depth=2
	ds_read_b32 v1, v0 offset:784
	s_waitcnt lgkmcnt(0)
	v_and_b32_e32 v1, 15, v1
	v_cmp_eq_u32_e32 vcc, 0, v1
	s_and_b64 vcc, s[26:27], vcc
	s_andn2_b64 s[26:27], s[26:27], exec
	s_and_b64 vcc, vcc, exec
	s_or_b64 s[26:27], s[26:27], vcc
.LBB4_873:                              ;   in Loop: Header=BB4_806 Depth=2
	s_or_b64 exec, exec, s[36:37]
	v_cmp_eq_u32_e32 vcc, 0, v4
	s_xor_b64 s[26:27], s[26:27], -1
	v_cndmask_b32_e32 v23, 0, v24, vcc
	v_cndmask_b32_e64 v4, 0, 1, s[26:27]
	v_mov_b32_e32 v1, 0
	s_mov_b64 s[52:53], -1
	;;#ASMSTART
	;;#ASMEND
	v_cmp_ne_u32_e32 vcc, 0, v4
	v_mov_b32_e32 v9, v23
	v_mov_b32_e32 v18, v0
	s_cbranch_vccz .LBB4_896
; %bb.874:                              ;   in Loop: Header=BB4_806 Depth=2
	s_and_saveexec_b64 s[26:27], s[52:53]
	s_cbranch_execz .LBB4_907
.LBB4_875:                              ;   in Loop: Header=BB4_806 Depth=2
	v_ashrrev_i32_e32 v4, 31, v18
	v_lshrrev_b32_e32 v4, 26, v4
	v_add_u32_e32 v14, v18, v4
	v_ashrrev_i32_e32 v4, 31, v9
	v_lshrrev_b32_e32 v4, 23, v4
	v_add_u32_e32 v4, v9, v4
	v_ashrrev_i32_e32 v19, 6, v14
	v_ashrrev_i32_e32 v48, 9, v4
	v_sub_u32_e32 v31, v48, v19
	v_cmp_lt_i32_e32 vcc, 0, v31
	s_and_saveexec_b64 s[36:37], vcc
	s_cbranch_execz .LBB4_879
; %bb.876:                              ;   in Loop: Header=BB4_806 Depth=2
	s_trap 2
	ds_read_b64 v[4:5], v0
	v_and_b32_e32 v10, 0xffffffc0, v14
	v_sub_u32_e32 v10, v18, v10
	v_lshlrev_b32_e32 v14, 9, v19
	v_add3_u32 v14, v1, v10, v14
	v_ashrrev_i32_e32 v15, 31, v14
	s_mov_b64 s[52:53], 0
	s_waitcnt lgkmcnt(0)
	v_pk_mov_b32 v[16:17], v[4:5], v[4:5] op_sel:[0,1]
.LBB4_877:                              ;   Parent Loop BB4_83 Depth=1
                                        ;     Parent Loop BB4_806 Depth=2
                                        ; =>    This Inner Loop Header: Depth=3
	v_add_co_u32_e32 v54, vcc, v14, v16
	v_addc_co_u32_e32 v55, vcc, v15, v17, vcc
	flat_load_ubyte v10, v[54:55] glc slc
	flat_load_ubyte v51, v[54:55] offset:64 glc slc
	flat_load_ubyte v45, v[54:55] offset:128 glc slc
	;; [unrolled: 1-line block ×7, first 2 shown]
	v_add_co_u32_e32 v54, vcc, v14, v4
	v_addc_co_u32_e32 v55, vcc, v15, v5, vcc
	v_add_co_u32_e32 v16, vcc, v16, v40
	v_addc_co_u32_e32 v17, vcc, v17, v20, vcc
	v_add_co_u32_e32 v4, vcc, v4, v40
	v_sub_u32_e32 v31, v31, v50
	v_addc_co_u32_e32 v5, vcc, v5, v20, vcc
	v_cmp_gt_i32_e32 vcc, 1, v31
	s_or_b64 s[52:53], vcc, s[52:53]
	s_waitcnt vmcnt(0) lgkmcnt(0)
	flat_store_byte v[54:55], v10 glc slc
	flat_store_byte v[54:55], v51 offset:64 glc slc
	flat_store_byte v[54:55], v45 offset:128 glc slc
	;; [unrolled: 1-line block ×7, first 2 shown]
	s_andn2_b64 exec, exec, s[52:53]
	s_cbranch_execnz .LBB4_877
; %bb.878:                              ;   in Loop: Header=BB4_806 Depth=2
	s_or_b64 exec, exec, s[52:53]
	v_accvgpr_read_b32 v55, a21
	v_accvgpr_read_b32 v54, a20
.LBB4_879:                              ;   in Loop: Header=BB4_806 Depth=2
	s_or_b64 exec, exec, s[36:37]
	v_lshlrev_b32_e32 v4, 9, v48
	v_cmp_ne_u32_e32 vcc, v9, v4
	s_and_saveexec_b64 s[36:37], vcc
	s_cbranch_execz .LBB4_883
; %bb.880:                              ;   in Loop: Header=BB4_806 Depth=2
	v_lshlrev_b32_e32 v5, 6, v19
	v_sub_u32_e32 v5, v18, v5
	v_lshlrev_b32_e32 v10, 6, v31
	v_sub_u32_e32 v5, v5, v10
	v_add_u32_e32 v14, v4, v5
	v_sub_u32_e32 v9, v9, v14
	v_cmp_lt_i32_e32 vcc, 0, v9
	s_and_b64 exec, exec, vcc
	s_cbranch_execz .LBB4_883
; %bb.881:                              ;   in Loop: Header=BB4_806 Depth=2
	s_trap 2
	ds_read_b64 v[4:5], v0
	v_add_u32_e32 v14, v14, v1
	v_ashrrev_i32_e32 v15, 31, v14
	s_mov_b64 s[52:53], 0
.LBB4_882:                              ;   Parent Loop BB4_83 Depth=1
                                        ;     Parent Loop BB4_806 Depth=2
                                        ; =>    This Inner Loop Header: Depth=3
	s_waitcnt lgkmcnt(0)
	v_add_co_u32_e32 v16, vcc, v4, v14
	v_addc_co_u32_e32 v17, vcc, v5, v15, vcc
	flat_load_ubyte v1, v[16:17] glc slc
	v_add_co_u32_e32 v14, vcc, v14, v21
	v_sub_u32_e32 v9, v9, v25
	v_addc_co_u32_e32 v15, vcc, v15, v8, vcc
	v_cmp_gt_i32_e32 vcc, 1, v9
	s_or_b64 s[52:53], vcc, s[52:53]
	s_waitcnt vmcnt(0) lgkmcnt(0)
	flat_store_byte v[16:17], v1 glc slc
	s_andn2_b64 exec, exec, s[52:53]
	s_cbranch_execnz .LBB4_882
.LBB4_883:                              ;   in Loop: Header=BB4_806 Depth=2
	s_or_b64 exec, exec, s[36:37]
	s_or_b64 exec, exec, s[26:27]
	s_and_saveexec_b64 s[26:27], s[10:11]
	s_cbranch_execz .LBB4_908
	s_branch .LBB4_885
.LBB4_884:                              ;   in Loop: Header=BB4_806 Depth=2
	s_and_saveexec_b64 s[26:27], s[10:11]
	s_cbranch_execz .LBB4_908
.LBB4_885:                              ;   in Loop: Header=BB4_806 Depth=2
	s_and_saveexec_b64 vcc, s[46:47]
	s_xor_b64 s[36:37], exec, vcc
	s_cbranch_execz .LBB4_916
; %bb.886:                              ;   in Loop: Header=BB4_806 Depth=2
	s_and_saveexec_b64 s[52:53], s[16:17]
	s_cbranch_execz .LBB4_915
; %bb.887:                              ;   in Loop: Header=BB4_806 Depth=2
	s_mov_b64 s[56:57], exec
	v_mbcnt_lo_u32_b32 v1, s56, 0
	v_mbcnt_hi_u32_b32 v1, s57, v1
	v_cmp_eq_u32_e32 vcc, 0, v1
	s_waitcnt vmcnt(0) lgkmcnt(0)
	buffer_wbinvl1_vol
	s_and_saveexec_b64 s[54:55], vcc
	s_cbranch_execz .LBB4_889
; %bb.888:                              ;   in Loop: Header=BB4_806 Depth=2
	s_bcnt1_i32_b64 vcc_lo, s[56:57]
	v_mov_b32_e32 v48, vcc_lo
	ds_add_u64 v0, v[48:49]
	s_trap 2
.LBB4_889:                              ;   in Loop: Header=BB4_806 Depth=2
	s_or_b64 exec, exec, s[54:55]
	s_trap 2
	ds_read_b64 v[4:5], v0
	v_add_co_u32_e32 v34, vcc, v34, v50
	v_addc_co_u32_e32 v35, vcc, 0, v35, vcc
	s_waitcnt lgkmcnt(0)
	v_cmp_lt_u64_e32 vcc, v[4:5], v[34:35]
	s_and_saveexec_b64 s[54:55], vcc
	s_cbranch_execz .LBB4_914
; %bb.890:                              ;   in Loop: Header=BB4_806 Depth=2
	s_mov_b32 s67, 0
	s_mov_b64 s[56:57], 0
                                        ; implicit-def: $sgpr58_sgpr59
                                        ; implicit-def: $sgpr60_sgpr61
	s_branch .LBB4_892
.LBB4_891:                              ;   in Loop: Header=BB4_892 Depth=3
	s_or_b64 exec, exec, s[64:65]
	s_and_b64 vcc, exec, vcc
	s_or_b64 s[56:57], vcc, s[56:57]
	s_andn2_b64 vcc, s[58:59], exec
	s_and_b64 s[58:59], s[60:61], exec
	s_or_b64 s[58:59], vcc, s[58:59]
	s_andn2_b64 exec, exec, s[56:57]
	s_cbranch_execz .LBB4_912
.LBB4_892:                              ;   Parent Loop BB4_83 Depth=1
                                        ;     Parent Loop BB4_806 Depth=2
                                        ; =>    This Inner Loop Header: Depth=3
	s_add_i32 s67, s67, 1
	s_cmpk_lg_i32 s67, 0x2710
	s_cselect_b64 s[62:63], -1, 0
	s_and_b64 vcc, exec, s[62:63]
                                        ; implicit-def: $sgpr64_sgpr65
	s_cbranch_vccnz .LBB4_894
; %bb.893:                              ;   in Loop: Header=BB4_892 Depth=3
	s_trap 2
	ds_read_b64 v[4:5], v0
	s_andn2_b64 s[62:63], s[62:63], exec
	s_mov_b32 s67, 0
	s_mov_b64 s[64:65], -1
	s_waitcnt lgkmcnt(0)
	flat_load_dword v1, v[4:5] glc
	s_waitcnt vmcnt(0) lgkmcnt(0)
	buffer_invl2
	buffer_wbinvl1_vol
	v_cmp_eq_u32_e32 vcc, 0, v1
	s_and_b64 vcc, vcc, exec
	s_or_b64 s[62:63], s[62:63], vcc
.LBB4_894:                              ;   in Loop: Header=BB4_892 Depth=3
	s_andn2_b64 s[60:61], s[60:61], exec
	s_and_b64 s[64:65], s[64:65], exec
	s_mov_b64 vcc, -1
	s_or_b64 s[60:61], s[60:61], s[64:65]
	s_and_saveexec_b64 s[64:65], s[62:63]
	s_cbranch_execz .LBB4_891
; %bb.895:                              ;   in Loop: Header=BB4_892 Depth=3
	s_sleep 1
	s_trap 2
	ds_read_b64 v[4:5], v0
	s_andn2_b64 s[60:61], s[60:61], exec
	s_waitcnt lgkmcnt(0)
	v_cmp_ge_u64_e32 vcc, v[4:5], v[34:35]
	s_orn2_b64 vcc, vcc, exec
	s_branch .LBB4_891
.LBB4_896:                              ;   in Loop: Header=BB4_806 Depth=2
	v_ashrrev_i32_e32 v4, 31, v23
	v_lshrrev_b32_e32 v4, 22, v4
	v_add_u32_e32 v4, v23, v4
	v_and_b32_e32 v17, 0xfffffc00, v4
	v_sub_u32_e32 v31, v23, v17
	v_ashrrev_i32_e32 v5, 10, v4
	v_cmp_lt_i32_e32 vcc, 15, v31
	v_accvgpr_read_b32 v4, a24
	v_sub_u32_e32 v1, v23, v52
	v_addc_co_u32_e64 v19, s[26:27], v5, v4, vcc
	v_cmp_lt_i32_e64 s[26:27], 15, v1
	s_and_saveexec_b64 s[36:37], s[26:27]
	s_cbranch_execz .LBB4_900
; %bb.897:                              ;   in Loop: Header=BB4_806 Depth=2
	s_trap 2
	ds_read_b64 v[4:5], v0
	s_mov_b64 s[52:53], 0
	v_pk_mov_b32 v[14:15], v[52:53], v[52:53] op_sel:[0,1]
.LBB4_898:                              ;   Parent Loop BB4_83 Depth=1
                                        ;     Parent Loop BB4_806 Depth=2
                                        ; =>    This Inner Loop Header: Depth=3
	s_waitcnt lgkmcnt(0)
	v_add_co_u32_e64 v58, s[26:27], v4, v14
	v_addc_co_u32_e64 v59, s[26:27], v5, v15, s[26:27]
	global_load_dwordx4 v[54:57], v[58:59], off glc slc
	v_add_co_u32_e64 v14, s[26:27], v14, v11
	v_sub_u32_e32 v1, v1, v47
	v_addc_co_u32_e64 v15, s[26:27], v15, v6, s[26:27]
	v_cmp_gt_i32_e64 s[26:27], 16, v1
	v_sub_u32_e32 v19, v19, v50
	s_or_b64 s[52:53], s[26:27], s[52:53]
	s_waitcnt vmcnt(0)
	global_store_dwordx4 v[58:59], v[54:57], off glc slc
	s_andn2_b64 exec, exec, s[52:53]
	s_cbranch_execnz .LBB4_898
; %bb.899:                              ;   in Loop: Header=BB4_806 Depth=2
	s_or_b64 exec, exec, s[52:53]
	v_accvgpr_read_b32 v55, a21
	v_accvgpr_read_b32 v54, a20
.LBB4_900:                              ;   in Loop: Header=BB4_806 Depth=2
	s_or_b64 exec, exec, s[36:37]
	v_and_b32_e32 v4, 15, v23
	v_cndmask_b32_e32 v16, v31, v4, vcc
	v_cmp_ne_u32_e64 s[26:27], 0, v16
	s_mov_b64 s[52:53], 0
	v_mov_b32_e32 v1, 0
                                        ; implicit-def: $vgpr9
                                        ; implicit-def: $vgpr18
	s_and_saveexec_b64 s[36:37], s[26:27]
	s_cbranch_execz .LBB4_906
; %bb.901:                              ;   in Loop: Header=BB4_806 Depth=2
	v_sub_u32_e32 v1, v31, v4
	v_cndmask_b32_e32 v1, 0, v1, vcc
	v_cmp_lt_i32_e32 vcc, 0, v19
	v_cndmask_b32_e32 v4, 0, v50, vcc
	v_sub_u32_e32 v4, v4, v19
	v_accvgpr_read_b32 v5, a23
	v_lshl_add_u32 v4, v4, 6, v5
	v_ashrrev_i32_e32 v5, 31, v4
	v_lshrrev_b32_e32 v5, 26, v5
	v_add_u32_e32 v5, v4, v5
	v_ashrrev_i32_e32 v10, 6, v5
	v_and_b32_e32 v5, 0xffffffc0, v5
	v_add_u32_e32 v1, v1, v17
	v_sub_u32_e32 v17, v4, v5
	v_lshlrev_b32_e32 v4, 4, v17
	v_lshl_add_u32 v14, v10, 10, v4
	v_ashrrev_i32_e32 v4, 31, v16
	v_lshrrev_b32_e32 v4, 22, v4
	v_add_u32_e32 v4, v16, v4
	v_and_b32_e32 v9, 0xfffffc00, v4
	v_sub_u32_e32 v18, v16, v9
	v_ashrrev_i32_e32 v5, 10, v4
	v_cmp_lt_i32_e32 vcc, 15, v18
	v_sub_u32_e32 v31, v16, v14
	v_addc_co_u32_e64 v4, s[26:27], 0, v5, vcc
	v_sub_u32_e32 v19, v4, v10
	v_cmp_lt_i32_e64 s[26:27], 15, v31
	s_and_saveexec_b64 s[52:53], s[26:27]
	s_cbranch_execz .LBB4_905
; %bb.902:                              ;   in Loop: Header=BB4_806 Depth=2
	s_trap 2
	ds_read_b64 v[4:5], v0
	v_add_u32_e32 v14, v14, v1
	v_ashrrev_i32_e32 v15, 31, v14
	s_mov_b64 s[54:55], 0
.LBB4_903:                              ;   Parent Loop BB4_83 Depth=1
                                        ;     Parent Loop BB4_806 Depth=2
                                        ; =>    This Inner Loop Header: Depth=3
	s_waitcnt lgkmcnt(0)
	v_add_co_u32_e64 v58, s[26:27], v4, v14
	v_addc_co_u32_e64 v59, s[26:27], v5, v15, s[26:27]
	global_load_dwordx4 v[54:57], v[58:59], off glc slc
	v_add_co_u32_e64 v14, s[26:27], v14, v11
	v_sub_u32_e32 v31, v31, v47
	v_addc_co_u32_e64 v15, s[26:27], v15, v6, s[26:27]
	v_cmp_gt_i32_e64 s[26:27], 16, v31
	v_sub_u32_e32 v19, v19, v50
	s_or_b64 s[54:55], s[26:27], s[54:55]
	s_waitcnt vmcnt(0)
	global_store_dwordx4 v[58:59], v[54:57], off glc slc
	s_andn2_b64 exec, exec, s[54:55]
	s_cbranch_execnz .LBB4_903
; %bb.904:                              ;   in Loop: Header=BB4_806 Depth=2
	s_or_b64 exec, exec, s[54:55]
	v_accvgpr_read_b32 v55, a21
	v_accvgpr_read_b32 v54, a20
.LBB4_905:                              ;   in Loop: Header=BB4_806 Depth=2
	s_or_b64 exec, exec, s[52:53]
	v_and_b32_e32 v4, 15, v16
	v_sub_u32_e32 v5, v18, v4
	v_cndmask_b32_e32 v5, 0, v5, vcc
	v_add3_u32 v1, v9, v1, v5
	v_cndmask_b32_e32 v9, v18, v4, vcc
	v_cmp_lt_i32_e32 vcc, 0, v19
	v_cndmask_b32_e32 v4, 0, v50, vcc
	v_sub_u32_e32 v4, v4, v19
	v_cmp_ne_u32_e32 vcc, 0, v9
	v_lshl_add_u32 v18, v4, 6, v17
	s_and_b64 s[52:53], vcc, exec
.LBB4_906:                              ;   in Loop: Header=BB4_806 Depth=2
	s_or_b64 exec, exec, s[36:37]
	s_and_saveexec_b64 s[26:27], s[52:53]
	s_cbranch_execnz .LBB4_875
.LBB4_907:                              ;   in Loop: Header=BB4_806 Depth=2
	s_or_b64 exec, exec, s[26:27]
	s_and_saveexec_b64 s[26:27], s[10:11]
	s_cbranch_execnz .LBB4_885
.LBB4_908:                              ;   in Loop: Header=BB4_806 Depth=2
	s_or_b64 exec, exec, s[26:27]
	s_and_saveexec_b64 s[26:27], s[24:25]
	s_xor_b64 s[36:37], exec, s[26:27]
	s_cbranch_execz .LBB4_919
.LBB4_909:                              ;   in Loop: Header=BB4_806 Depth=2
	v_and_b32_e32 v1, 16, v62
	v_cmp_lt_i32_e32 vcc, 0, v23
	v_cmp_ne_u32_e64 s[26:27], 0, v1
	s_and_b64 vcc, s[26:27], vcc
	s_and_saveexec_b64 s[26:27], vcc
	s_cbranch_execz .LBB4_911
; %bb.910:                              ;   in Loop: Header=BB4_806 Depth=2
	s_waitcnt vmcnt(0) lgkmcnt(0)
	buffer_wbinvl1_vol
.LBB4_911:                              ;   in Loop: Header=BB4_806 Depth=2
	s_or_b64 exec, exec, s[26:27]
	s_andn2_saveexec_b64 s[26:27], s[36:37]
	s_cbranch_execz .LBB4_938
	s_branch .LBB4_920
.LBB4_912:                              ;   in Loop: Header=BB4_806 Depth=2
	s_or_b64 exec, exec, s[56:57]
	s_and_saveexec_b64 vcc, s[58:59]
	s_xor_b64 vcc, exec, vcc
	s_cbranch_execz .LBB4_914
; %bb.913:                              ;   in Loop: Header=BB4_806 Depth=2
	ds_write_b32 v0, v46
	s_trap 2
.LBB4_914:                              ;   in Loop: Header=BB4_806 Depth=2
	s_or_b64 exec, exec, s[54:55]
	;;#ASMSTART
	s_wakeup
	;;#ASMEND
.LBB4_915:                              ;   in Loop: Header=BB4_806 Depth=2
	s_or_b64 exec, exec, s[52:53]
.LBB4_916:                              ;   in Loop: Header=BB4_806 Depth=2
	s_andn2_saveexec_b64 vcc, s[36:37]
	s_cbranch_execz .LBB4_918
; %bb.917:                              ;   in Loop: Header=BB4_806 Depth=2
	s_waitcnt vmcnt(0) lgkmcnt(0)
	buffer_wbinvl1_vol
	s_barrier
.LBB4_918:                              ;   in Loop: Header=BB4_806 Depth=2
	s_or_b64 exec, exec, vcc
	s_or_b64 exec, exec, s[26:27]
	s_and_saveexec_b64 s[26:27], s[24:25]
	s_xor_b64 s[36:37], exec, s[26:27]
	s_cbranch_execnz .LBB4_909
.LBB4_919:                              ;   in Loop: Header=BB4_806 Depth=2
	s_andn2_saveexec_b64 s[26:27], s[36:37]
	s_cbranch_execz .LBB4_938
.LBB4_920:                              ;   in Loop: Header=BB4_806 Depth=2
	s_and_saveexec_b64 vcc, s[46:47]
	s_xor_b64 s[36:37], exec, vcc
	s_cbranch_execz .LBB4_935
; %bb.921:                              ;   in Loop: Header=BB4_806 Depth=2
	s_and_saveexec_b64 s[52:53], s[16:17]
	s_cbranch_execz .LBB4_934
; %bb.922:                              ;   in Loop: Header=BB4_806 Depth=2
	s_mov_b64 s[56:57], exec
	v_mbcnt_lo_u32_b32 v1, s56, 0
	v_mbcnt_hi_u32_b32 v1, s57, v1
	v_cmp_eq_u32_e32 vcc, 0, v1
	;;#ASMSTART
	s_waitcnt lgkmcnt(0) vmcnt(0)
	;;#ASMEND
	s_and_saveexec_b64 s[54:55], vcc
	s_cbranch_execz .LBB4_924
; %bb.923:                              ;   in Loop: Header=BB4_806 Depth=2
	s_bcnt1_i32_b64 vcc_lo, s[56:57]
	v_mov_b32_e32 v48, vcc_lo
	ds_add_u64 v0, v[48:49]
	s_trap 2
.LBB4_924:                              ;   in Loop: Header=BB4_806 Depth=2
	s_or_b64 exec, exec, s[54:55]
	s_trap 2
	ds_read_b64 v[4:5], v0
	v_add_co_u32_e32 v34, vcc, v34, v50
	v_addc_co_u32_e32 v35, vcc, 0, v35, vcc
	s_waitcnt lgkmcnt(0)
	v_cmp_lt_u64_e32 vcc, v[4:5], v[34:35]
	s_and_saveexec_b64 s[54:55], vcc
	s_cbranch_execz .LBB4_933
; %bb.925:                              ;   in Loop: Header=BB4_806 Depth=2
	s_mov_b32 s67, 0
	s_mov_b64 s[56:57], 0
                                        ; implicit-def: $sgpr58_sgpr59
                                        ; implicit-def: $sgpr60_sgpr61
	s_branch .LBB4_927
.LBB4_926:                              ;   in Loop: Header=BB4_927 Depth=3
	s_or_b64 exec, exec, s[64:65]
	s_and_b64 vcc, exec, vcc
	s_or_b64 s[56:57], vcc, s[56:57]
	s_andn2_b64 vcc, s[58:59], exec
	s_and_b64 s[58:59], s[60:61], exec
	s_or_b64 s[58:59], vcc, s[58:59]
	s_andn2_b64 exec, exec, s[56:57]
	s_cbranch_execz .LBB4_931
.LBB4_927:                              ;   Parent Loop BB4_83 Depth=1
                                        ;     Parent Loop BB4_806 Depth=2
                                        ; =>    This Inner Loop Header: Depth=3
	s_add_i32 s67, s67, 1
	s_cmpk_lg_i32 s67, 0x2710
	s_cselect_b64 s[62:63], -1, 0
	s_and_b64 vcc, exec, s[62:63]
                                        ; implicit-def: $sgpr64_sgpr65
	s_cbranch_vccnz .LBB4_929
; %bb.928:                              ;   in Loop: Header=BB4_927 Depth=3
	s_trap 2
	ds_read_b64 v[4:5], v0
	s_andn2_b64 s[62:63], s[62:63], exec
	s_mov_b32 s67, 0
	s_mov_b64 s[64:65], -1
	s_waitcnt vmcnt(0) lgkmcnt(0)
	flat_load_dword v1, v[4:5] glc
	s_waitcnt vmcnt(0) lgkmcnt(0)
	buffer_invl2
	buffer_wbinvl1_vol
	v_cmp_eq_u32_e32 vcc, 0, v1
	s_and_b64 vcc, vcc, exec
	s_or_b64 s[62:63], s[62:63], vcc
.LBB4_929:                              ;   in Loop: Header=BB4_927 Depth=3
	s_andn2_b64 s[60:61], s[60:61], exec
	s_and_b64 s[64:65], s[64:65], exec
	s_mov_b64 vcc, -1
	s_or_b64 s[60:61], s[60:61], s[64:65]
	s_and_saveexec_b64 s[64:65], s[62:63]
	s_cbranch_execz .LBB4_926
; %bb.930:                              ;   in Loop: Header=BB4_927 Depth=3
	s_sleep 1
	s_trap 2
	ds_read_b64 v[4:5], v0
	s_andn2_b64 s[60:61], s[60:61], exec
	s_waitcnt lgkmcnt(0)
	v_cmp_ge_u64_e32 vcc, v[4:5], v[34:35]
	s_orn2_b64 vcc, vcc, exec
	s_branch .LBB4_926
.LBB4_931:                              ;   in Loop: Header=BB4_806 Depth=2
	s_or_b64 exec, exec, s[56:57]
	s_and_saveexec_b64 vcc, s[58:59]
	s_xor_b64 vcc, exec, vcc
	s_cbranch_execz .LBB4_933
; %bb.932:                              ;   in Loop: Header=BB4_806 Depth=2
	ds_write_b32 v0, v46
	s_trap 2
.LBB4_933:                              ;   in Loop: Header=BB4_806 Depth=2
	s_or_b64 exec, exec, s[54:55]
	;;#ASMSTART
	s_wakeup
	;;#ASMEND
.LBB4_934:                              ;   in Loop: Header=BB4_806 Depth=2
	s_or_b64 exec, exec, s[52:53]
.LBB4_935:                              ;   in Loop: Header=BB4_806 Depth=2
	s_andn2_saveexec_b64 vcc, s[36:37]
	s_cbranch_execz .LBB4_937
; %bb.936:                              ;   in Loop: Header=BB4_806 Depth=2
	;;#ASMSTART
	s_waitcnt lgkmcnt(0) vmcnt(0)
	;;#ASMEND
	s_barrier
.LBB4_937:                              ;   in Loop: Header=BB4_806 Depth=2
	s_or_b64 exec, exec, vcc
.LBB4_938:                              ;   in Loop: Header=BB4_806 Depth=2
	s_or_b64 exec, exec, s[26:27]
	v_and_b32_e32 v1, 32, v62
	v_cmp_ne_u32_e32 vcc, 0, v1
	s_and_saveexec_b64 s[26:27], vcc
	s_cbranch_execz .LBB4_805
; %bb.939:                              ;   in Loop: Header=BB4_806 Depth=2
	v_add_co_u32_e32 v26, vcc, 2, v26
	v_addc_co_u32_e32 v27, vcc, 0, v27, vcc
	flat_store_dwordx2 v[28:29], v[26:27]
	s_branch .LBB4_805
.LBB4_940:                              ;   in Loop: Header=BB4_83 Depth=1
	s_or_b64 exec, exec, s[30:31]
	s_or_b64 exec, exec, s[28:29]
	v_cmp_gt_i32_e32 vcc, 2, v1
	s_and_saveexec_b64 s[28:29], vcc
	s_cbranch_execz .LBB4_82
.LBB4_941:                              ;   in Loop: Header=BB4_83 Depth=1
	v_cmp_eq_u32_e64 s[26:27], 0, v1
	s_mov_b64 s[30:31], 0
	s_branch .LBB4_943
.LBB4_942:                              ;   in Loop: Header=BB4_943 Depth=2
	s_or_b64 exec, exec, s[26:27]
	v_add_u32_e32 v22, v24, v22
	s_mov_b64 s[26:27], 0
	s_andn2_b64 exec, exec, s[30:31]
	s_cbranch_execz .LBB4_81
.LBB4_943:                              ;   Parent Loop BB4_83 Depth=1
                                        ; =>  This Loop Header: Depth=2
                                        ;       Child Loop BB4_949 Depth 3
                                        ;       Child Loop BB4_973 Depth 3
	;; [unrolled: 1-line block ×3, first 2 shown]
	v_and_b32_e32 v1, 4, v62
	s_mov_b64 s[36:37], -1
	v_cmp_ne_u32_e32 vcc, 0, v1
	s_and_saveexec_b64 s[34:35], vcc
	s_cbranch_execz .LBB4_955
; %bb.944:                              ;   in Loop: Header=BB4_943 Depth=2
	v_add_co_u32_e32 v2, vcc, 2, v26
	v_addc_co_u32_e32 v3, vcc, 0, v27, vcc
	v_cmp_lt_u64_e32 vcc, v[38:39], v[2:3]
	v_mov_b32_e32 v1, 1
	s_and_saveexec_b64 s[36:37], vcc
	s_cbranch_execz .LBB4_954
; %bb.945:                              ;   in Loop: Header=BB4_943 Depth=2
	s_mov_b64 s[52:53], 0
	v_mov_b32_e32 v1, 0
                                        ; implicit-def: $sgpr54_sgpr55
	s_branch .LBB4_949
.LBB4_946:                              ;   in Loop: Header=BB4_949 Depth=3
	s_or_b64 exec, exec, s[62:63]
	v_mov_b32_e32 v4, 0
	s_orn2_b64 s[60:61], s[60:61], exec
.LBB4_947:                              ;   in Loop: Header=BB4_949 Depth=3
	s_or_b64 exec, exec, s[58:59]
	s_andn2_b64 vcc, s[54:55], exec
	s_and_b64 s[54:55], s[60:61], exec
	s_or_b64 s[54:55], vcc, s[54:55]
	v_mov_b32_e32 v1, v4
.LBB4_948:                              ;   in Loop: Header=BB4_949 Depth=3
	s_or_b64 exec, exec, s[56:57]
	s_waitcnt vmcnt(0) lgkmcnt(0)
	v_cmp_ge_u64_e32 vcc, v[38:39], v[2:3]
	s_xor_b64 s[56:57], s[54:55], -1
	s_or_b64 vcc, s[56:57], vcc
	s_and_b64 vcc, exec, vcc
	s_or_b64 s[52:53], vcc, s[52:53]
	s_andn2_b64 exec, exec, s[52:53]
	s_cbranch_execz .LBB4_953
.LBB4_949:                              ;   Parent Loop BB4_83 Depth=1
                                        ;     Parent Loop BB4_943 Depth=2
                                        ; =>    This Inner Loop Header: Depth=3
	s_sleep 1
	flat_load_dwordx2 v[38:39], v[28:29] glc
	v_and_b32_e32 v4, 64, v62
	v_cmp_eq_u32_e32 vcc, 0, v4
	s_andn2_b64 s[54:55], s[54:55], exec
	s_and_saveexec_b64 s[56:57], vcc
	s_cbranch_execz .LBB4_948
; %bb.950:                              ;   in Loop: Header=BB4_949 Depth=3
	v_add_u32_e32 v4, 1, v1
	v_cmp_lt_i32_e32 vcc, s72, v1
	s_mov_b64 s[60:61], -1
	s_and_saveexec_b64 s[58:59], vcc
	s_cbranch_execz .LBB4_947
; %bb.951:                              ;   in Loop: Header=BB4_949 Depth=3
	s_trap 2
	ds_read_b64 v[4:5], v0
	s_waitcnt vmcnt(0) lgkmcnt(0)
	flat_load_dword v1, v[4:5] glc
	s_waitcnt vmcnt(0) lgkmcnt(0)
	buffer_invl2
	buffer_wbinvl1_vol
	v_cmp_ne_u32_e32 vcc, 0, v1
	s_and_saveexec_b64 s[62:63], vcc
	s_cbranch_execz .LBB4_946
; %bb.952:                              ;   in Loop: Header=BB4_949 Depth=3
	v_or_b32_e32 v62, 64, v62
	s_xor_b64 s[60:61], exec, -1
	ds_write_b32 v0, v1
	s_trap 2
	s_branch .LBB4_946
.LBB4_953:                              ;   in Loop: Header=BB4_943 Depth=2
	s_or_b64 exec, exec, s[52:53]
	v_and_b32_e32 v1, 4, v62
.LBB4_954:                              ;   in Loop: Header=BB4_943 Depth=2
	s_or_b64 exec, exec, s[36:37]
	v_cmp_eq_u32_e32 vcc, 0, v1
	s_orn2_b64 s[36:37], vcc, exec
	;;#ASMSTART
	s_wakeup
	;;#ASMEND
.LBB4_955:                              ;   in Loop: Header=BB4_943 Depth=2
	s_or_b64 exec, exec, s[34:35]
	s_xor_b64 s[26:27], s[26:27], -1
	s_and_b64 s[26:27], exec, s[26:27]
	s_or_b64 s[30:31], s[26:27], s[30:31]
	s_xor_b64 s[26:27], s[36:37], -1
	s_and_saveexec_b64 s[34:35], s[26:27]
	s_cbranch_execz .LBB4_965
; %bb.956:                              ;   in Loop: Header=BB4_943 Depth=2
	v_and_b32_e32 v1, 0x100, v62
	v_cmp_ne_u32_e32 vcc, 0, v1
	v_and_b32_e32 v1, 7, v26
	s_mov_b64 s[26:27], -1
                                        ; implicit-def: $vgpr2_vgpr3
	s_and_saveexec_b64 s[36:37], vcc
	s_cbranch_execz .LBB4_960
; %bb.957:                              ;   in Loop: Header=BB4_943 Depth=2
	v_mad_u64_u32 v[4:5], s[26:27], v1, 24, v[12:13]
	flat_load_dword v2, v[4:5]
	s_waitcnt vmcnt(0) lgkmcnt(0)
	v_cmp_ne_u32_e32 vcc, 1, v2
	v_cmp_eq_u32_e64 s[26:27], 1, v2
                                        ; implicit-def: $vgpr2_vgpr3
	s_and_saveexec_b64 s[52:53], s[26:27]
	s_cbranch_execz .LBB4_959
; %bb.958:                              ;   in Loop: Header=BB4_943 Depth=2
	flat_load_dword v2, v[4:5] offset:4 glc
	s_waitcnt vmcnt(0) lgkmcnt(0)
	v_ashrrev_i32_e32 v3, 31, v2
.LBB4_959:                              ;   in Loop: Header=BB4_943 Depth=2
	s_or_b64 exec, exec, s[52:53]
	s_orn2_b64 s[26:27], vcc, exec
.LBB4_960:                              ;   in Loop: Header=BB4_943 Depth=2
	s_or_b64 exec, exec, s[36:37]
	s_and_saveexec_b64 vcc, s[26:27]
; %bb.961:                              ;   in Loop: Header=BB4_943 Depth=2
	v_mad_i64_i32 v[2:3], s[26:27], v1, v30, 0
; %bb.962:                              ;   in Loop: Header=BB4_943 Depth=2
	s_or_b64 exec, exec, vcc
	v_add_co_u32_e32 v2, vcc, v32, v2
	v_addc_co_u32_e32 v3, vcc, v33, v3, vcc
	v_and_b32_e32 v1, 0x2000, v62
	v_cmp_ne_u32_e32 vcc, 0, v1
	ds_write_b64 v0, v[2:3] offset:720
	s_and_saveexec_b64 s[26:27], vcc
	s_cbranch_execz .LBB4_964
; %bb.963:                              ;   in Loop: Header=BB4_943 Depth=2
	ds_read_b64 v[2:3], v0 offset:584
	s_waitcnt lgkmcnt(0)
	v_add_co_u32_e32 v2, vcc, 1, v2
	v_addc_co_u32_e32 v3, vcc, 0, v3, vcc
	ds_write_b64 v0, v[2:3] offset:584
.LBB4_964:                              ;   in Loop: Header=BB4_943 Depth=2
	s_or_b64 exec, exec, s[26:27]
	v_add_co_u32_e32 v26, vcc, 2, v26
	v_addc_co_u32_e32 v27, vcc, 0, v27, vcc
.LBB4_965:                              ;   in Loop: Header=BB4_943 Depth=2
	s_or_b64 exec, exec, s[34:35]
	s_and_saveexec_b64 s[26:27], s[10:11]
	s_cbranch_execz .LBB4_984
; %bb.966:                              ;   in Loop: Header=BB4_943 Depth=2
	s_and_saveexec_b64 vcc, s[46:47]
	s_xor_b64 s[34:35], exec, vcc
	s_cbranch_execz .LBB4_981
; %bb.967:                              ;   in Loop: Header=BB4_943 Depth=2
	s_and_saveexec_b64 s[36:37], s[16:17]
	s_cbranch_execz .LBB4_980
; %bb.968:                              ;   in Loop: Header=BB4_943 Depth=2
	s_mov_b64 s[54:55], exec
	v_mbcnt_lo_u32_b32 v1, s54, 0
	v_mbcnt_hi_u32_b32 v1, s55, v1
	v_cmp_eq_u32_e32 vcc, 0, v1
	s_waitcnt vmcnt(0) lgkmcnt(0)
	buffer_wbinvl1_vol
	s_and_saveexec_b64 s[52:53], vcc
	s_cbranch_execz .LBB4_970
; %bb.969:                              ;   in Loop: Header=BB4_943 Depth=2
	s_bcnt1_i32_b64 vcc_lo, s[54:55]
	v_mov_b32_e32 v48, vcc_lo
	ds_add_u64 v0, v[48:49]
	s_trap 2
.LBB4_970:                              ;   in Loop: Header=BB4_943 Depth=2
	s_or_b64 exec, exec, s[52:53]
	s_trap 2
	ds_read_b64 v[2:3], v0
	v_add_co_u32_e32 v34, vcc, v34, v50
	v_addc_co_u32_e32 v35, vcc, 0, v35, vcc
	s_waitcnt lgkmcnt(0)
	v_cmp_lt_u64_e32 vcc, v[2:3], v[34:35]
	s_and_saveexec_b64 s[52:53], vcc
	s_cbranch_execz .LBB4_979
; %bb.971:                              ;   in Loop: Header=BB4_943 Depth=2
	s_mov_b32 s64, 0
	s_mov_b64 s[54:55], 0
                                        ; implicit-def: $sgpr56_sgpr57
                                        ; implicit-def: $sgpr58_sgpr59
	s_branch .LBB4_973
.LBB4_972:                              ;   in Loop: Header=BB4_973 Depth=3
	s_or_b64 exec, exec, s[62:63]
	s_and_b64 vcc, exec, vcc
	s_or_b64 s[54:55], vcc, s[54:55]
	s_andn2_b64 vcc, s[56:57], exec
	s_and_b64 s[56:57], s[58:59], exec
	s_or_b64 s[56:57], vcc, s[56:57]
	s_andn2_b64 exec, exec, s[54:55]
	s_cbranch_execz .LBB4_977
.LBB4_973:                              ;   Parent Loop BB4_83 Depth=1
                                        ;     Parent Loop BB4_943 Depth=2
                                        ; =>    This Inner Loop Header: Depth=3
	s_add_i32 s64, s64, 1
	s_cmpk_lg_i32 s64, 0x2710
	s_cselect_b64 s[60:61], -1, 0
	s_and_b64 vcc, exec, s[60:61]
                                        ; implicit-def: $sgpr62_sgpr63
	s_cbranch_vccnz .LBB4_975
; %bb.974:                              ;   in Loop: Header=BB4_973 Depth=3
	s_trap 2
	ds_read_b64 v[2:3], v0
	s_andn2_b64 s[60:61], s[60:61], exec
	s_mov_b32 s64, 0
	s_mov_b64 s[62:63], -1
	s_waitcnt lgkmcnt(0)
	flat_load_dword v1, v[2:3] glc
	s_waitcnt vmcnt(0) lgkmcnt(0)
	buffer_invl2
	buffer_wbinvl1_vol
	v_cmp_eq_u32_e32 vcc, 0, v1
	s_and_b64 vcc, vcc, exec
	s_or_b64 s[60:61], s[60:61], vcc
.LBB4_975:                              ;   in Loop: Header=BB4_973 Depth=3
	s_andn2_b64 s[58:59], s[58:59], exec
	s_and_b64 s[62:63], s[62:63], exec
	s_mov_b64 vcc, -1
	s_or_b64 s[58:59], s[58:59], s[62:63]
	s_and_saveexec_b64 s[62:63], s[60:61]
	s_cbranch_execz .LBB4_972
; %bb.976:                              ;   in Loop: Header=BB4_973 Depth=3
	s_sleep 1
	s_trap 2
	ds_read_b64 v[2:3], v0
	s_andn2_b64 s[58:59], s[58:59], exec
	s_waitcnt lgkmcnt(0)
	v_cmp_ge_u64_e32 vcc, v[2:3], v[34:35]
	s_orn2_b64 vcc, vcc, exec
	s_branch .LBB4_972
.LBB4_977:                              ;   in Loop: Header=BB4_943 Depth=2
	s_or_b64 exec, exec, s[54:55]
	s_and_saveexec_b64 vcc, s[56:57]
	s_xor_b64 vcc, exec, vcc
	s_cbranch_execz .LBB4_979
; %bb.978:                              ;   in Loop: Header=BB4_943 Depth=2
	ds_write_b32 v0, v46
	s_trap 2
.LBB4_979:                              ;   in Loop: Header=BB4_943 Depth=2
	s_or_b64 exec, exec, s[52:53]
	;;#ASMSTART
	s_wakeup
	;;#ASMEND
.LBB4_980:                              ;   in Loop: Header=BB4_943 Depth=2
	s_or_b64 exec, exec, s[36:37]
.LBB4_981:                              ;   in Loop: Header=BB4_943 Depth=2
	s_andn2_saveexec_b64 vcc, s[34:35]
	s_cbranch_execz .LBB4_983
; %bb.982:                              ;   in Loop: Header=BB4_943 Depth=2
	s_waitcnt vmcnt(0) lgkmcnt(0)
	buffer_wbinvl1_vol
	s_barrier
.LBB4_983:                              ;   in Loop: Header=BB4_943 Depth=2
	s_or_b64 exec, exec, vcc
.LBB4_984:                              ;   in Loop: Header=BB4_943 Depth=2
	s_or_b64 exec, exec, s[26:27]
	v_sub_u32_e32 v1, v7, v22
	v_min_i32_e32 v24, v24, v1
	s_and_saveexec_b64 s[26:27], s[24:25]
	s_xor_b64 s[26:27], exec, s[26:27]
	s_cbranch_execz .LBB4_988
; %bb.985:                              ;   in Loop: Header=BB4_943 Depth=2
	s_trap 2
	ds_read_b32 v1, v0
	v_cmp_lt_i32_e32 vcc, 0, v24
	v_and_b32_e32 v2, 16, v62
	s_waitcnt lgkmcnt(0)
	v_readfirstlane_b32 s34, v1
	s_cmp_eq_u32 s34, 0
	s_cselect_b64 s[34:35], -1, 0
	s_and_b64 s[34:35], vcc, s[34:35]
	v_cmp_ne_u32_e32 vcc, 0, v2
	s_and_b64 s[34:35], vcc, s[34:35]
	s_and_saveexec_b64 vcc, s[34:35]
	s_cbranch_execz .LBB4_987
; %bb.986:                              ;   in Loop: Header=BB4_943 Depth=2
	s_waitcnt vmcnt(0)
	buffer_wbinvl1_vol
.LBB4_987:                              ;   in Loop: Header=BB4_943 Depth=2
	s_or_b64 exec, exec, vcc
.LBB4_988:                              ;   in Loop: Header=BB4_943 Depth=2
	s_andn2_saveexec_b64 s[26:27], s[26:27]
	s_cbranch_execz .LBB4_1007
; %bb.989:                              ;   in Loop: Header=BB4_943 Depth=2
	s_and_saveexec_b64 vcc, s[46:47]
	s_xor_b64 s[34:35], exec, vcc
	s_cbranch_execz .LBB4_1004
; %bb.990:                              ;   in Loop: Header=BB4_943 Depth=2
	s_and_saveexec_b64 s[36:37], s[16:17]
	s_cbranch_execz .LBB4_1003
; %bb.991:                              ;   in Loop: Header=BB4_943 Depth=2
	s_mov_b64 s[54:55], exec
	v_mbcnt_lo_u32_b32 v1, s54, 0
	v_mbcnt_hi_u32_b32 v1, s55, v1
	v_cmp_eq_u32_e32 vcc, 0, v1
	;;#ASMSTART
	s_waitcnt lgkmcnt(0) vmcnt(0)
	;;#ASMEND
	s_and_saveexec_b64 s[52:53], vcc
	s_cbranch_execz .LBB4_993
; %bb.992:                              ;   in Loop: Header=BB4_943 Depth=2
	s_bcnt1_i32_b64 vcc_lo, s[54:55]
	v_mov_b32_e32 v48, vcc_lo
	ds_add_u64 v0, v[48:49]
	s_trap 2
.LBB4_993:                              ;   in Loop: Header=BB4_943 Depth=2
	s_or_b64 exec, exec, s[52:53]
	s_trap 2
	ds_read_b64 v[2:3], v0
	v_add_co_u32_e32 v34, vcc, v34, v50
	v_addc_co_u32_e32 v35, vcc, 0, v35, vcc
	s_waitcnt lgkmcnt(0)
	v_cmp_lt_u64_e32 vcc, v[2:3], v[34:35]
	s_and_saveexec_b64 s[52:53], vcc
	s_cbranch_execz .LBB4_1002
; %bb.994:                              ;   in Loop: Header=BB4_943 Depth=2
	s_mov_b32 s64, 0
	s_mov_b64 s[54:55], 0
                                        ; implicit-def: $sgpr56_sgpr57
                                        ; implicit-def: $sgpr58_sgpr59
	s_branch .LBB4_996
.LBB4_995:                              ;   in Loop: Header=BB4_996 Depth=3
	s_or_b64 exec, exec, s[62:63]
	s_and_b64 vcc, exec, vcc
	s_or_b64 s[54:55], vcc, s[54:55]
	s_andn2_b64 vcc, s[56:57], exec
	s_and_b64 s[56:57], s[58:59], exec
	s_or_b64 s[56:57], vcc, s[56:57]
	s_andn2_b64 exec, exec, s[54:55]
	s_cbranch_execz .LBB4_1000
.LBB4_996:                              ;   Parent Loop BB4_83 Depth=1
                                        ;     Parent Loop BB4_943 Depth=2
                                        ; =>    This Inner Loop Header: Depth=3
	s_add_i32 s64, s64, 1
	s_cmpk_lg_i32 s64, 0x2710
	s_cselect_b64 s[60:61], -1, 0
	s_and_b64 vcc, exec, s[60:61]
                                        ; implicit-def: $sgpr62_sgpr63
	s_cbranch_vccnz .LBB4_998
; %bb.997:                              ;   in Loop: Header=BB4_996 Depth=3
	s_trap 2
	ds_read_b64 v[2:3], v0
	s_andn2_b64 s[60:61], s[60:61], exec
	s_mov_b32 s64, 0
	s_mov_b64 s[62:63], -1
	s_waitcnt vmcnt(0) lgkmcnt(0)
	flat_load_dword v1, v[2:3] glc
	s_waitcnt vmcnt(0) lgkmcnt(0)
	buffer_invl2
	buffer_wbinvl1_vol
	v_cmp_eq_u32_e32 vcc, 0, v1
	s_and_b64 vcc, vcc, exec
	s_or_b64 s[60:61], s[60:61], vcc
.LBB4_998:                              ;   in Loop: Header=BB4_996 Depth=3
	s_andn2_b64 s[58:59], s[58:59], exec
	s_and_b64 s[62:63], s[62:63], exec
	s_mov_b64 vcc, -1
	s_or_b64 s[58:59], s[58:59], s[62:63]
	s_and_saveexec_b64 s[62:63], s[60:61]
	s_cbranch_execz .LBB4_995
; %bb.999:                              ;   in Loop: Header=BB4_996 Depth=3
	s_sleep 1
	s_trap 2
	ds_read_b64 v[2:3], v0
	s_andn2_b64 s[58:59], s[58:59], exec
	s_waitcnt lgkmcnt(0)
	v_cmp_ge_u64_e32 vcc, v[2:3], v[34:35]
	s_orn2_b64 vcc, vcc, exec
	s_branch .LBB4_995
.LBB4_1000:                             ;   in Loop: Header=BB4_943 Depth=2
	s_or_b64 exec, exec, s[54:55]
	s_and_saveexec_b64 vcc, s[56:57]
	s_xor_b64 vcc, exec, vcc
	s_cbranch_execz .LBB4_1002
; %bb.1001:                             ;   in Loop: Header=BB4_943 Depth=2
	ds_write_b32 v0, v46
	s_trap 2
.LBB4_1002:                             ;   in Loop: Header=BB4_943 Depth=2
	s_or_b64 exec, exec, s[52:53]
	;;#ASMSTART
	s_wakeup
	;;#ASMEND
.LBB4_1003:                             ;   in Loop: Header=BB4_943 Depth=2
	s_or_b64 exec, exec, s[36:37]
.LBB4_1004:                             ;   in Loop: Header=BB4_943 Depth=2
	s_andn2_saveexec_b64 vcc, s[34:35]
	s_cbranch_execz .LBB4_1006
; %bb.1005:                             ;   in Loop: Header=BB4_943 Depth=2
	;;#ASMSTART
	s_waitcnt lgkmcnt(0) vmcnt(0)
	;;#ASMEND
	s_barrier
.LBB4_1006:                             ;   in Loop: Header=BB4_943 Depth=2
	s_or_b64 exec, exec, vcc
.LBB4_1007:                             ;   in Loop: Header=BB4_943 Depth=2
	s_or_b64 exec, exec, s[26:27]
	v_and_b32_e32 v1, 32, v62
	v_cmp_ne_u32_e32 vcc, 0, v1
	s_and_saveexec_b64 s[26:27], vcc
	s_cbranch_execz .LBB4_942
; %bb.1008:                             ;   in Loop: Header=BB4_943 Depth=2
	v_add_co_u32_e32 v26, vcc, 2, v26
	v_addc_co_u32_e32 v27, vcc, 0, v27, vcc
	flat_store_dwordx2 v[28:29], v[26:27]
	s_branch .LBB4_942
.LBB4_1009:
	s_or_b64 exec, exec, s[44:45]
	v_accvgpr_read_b32 v21, a19
	v_accvgpr_read_b32 v24, a0
	;; [unrolled: 1-line block ×5, first 2 shown]
.LBB4_1010:
	s_or_b64 exec, exec, s[42:43]
	v_and_b32_e32 v0, 0x800, v62
	v_cmp_eq_u32_e32 vcc, 0, v0
	s_and_saveexec_b64 s[4:5], vcc
	s_cbranch_execz .LBB4_1045
; %bb.1011:
	v_and_b32_e32 v0, 48, v62
	v_cmp_ne_u32_e32 vcc, 0, v0
	s_and_saveexec_b64 s[6:7], vcc
	s_cbranch_execz .LBB4_1013
; %bb.1012:
	flat_store_dwordx2 v[20:21], v[26:27] offset:104
.LBB4_1013:
	s_or_b64 exec, exec, s[6:7]
	s_movk_i32 s6, 0x88
	v_and_b32_e32 v0, 0x88, v62
	v_cmp_eq_u32_e32 vcc, s6, v0
	s_and_saveexec_b64 s[6:7], vcc
	s_cbranch_execz .LBB4_1025
; %bb.1014:
	v_add_u32_e32 v0, 6, v26
	v_and_b32_e32 v0, 7, v0
	v_mad_u64_u32 v[0:1], s[10:11], v0, 24, v[12:13]
	v_add_co_u32_e32 v2, vcc, 8, v0
	v_addc_co_u32_e32 v3, vcc, 0, v1, vcc
	s_mov_b64 s[10:11], 0
	v_mov_b32_e32 v0, 0
	s_movk_i32 s24, 0x270e
                                        ; implicit-def: $sgpr12_sgpr13
	s_branch .LBB4_1019
.LBB4_1015:                             ;   in Loop: Header=BB4_1019 Depth=1
	s_or_b64 exec, exec, s[22:23]
	v_mov_b32_e32 v1, 0
	s_orn2_b64 s[20:21], s[20:21], exec
.LBB4_1016:                             ;   in Loop: Header=BB4_1019 Depth=1
	s_or_b64 exec, exec, s[18:19]
	s_and_b64 s[18:19], s[20:21], exec
	v_mov_b32_e32 v0, v1
.LBB4_1017:                             ;   in Loop: Header=BB4_1019 Depth=1
	s_or_b64 exec, exec, s[16:17]
	s_xor_b64 s[16:17], s[18:19], -1
	s_andn2_b64 s[12:13], s[12:13], exec
	s_and_b64 s[16:17], s[16:17], exec
	s_or_b64 s[12:13], s[12:13], s[16:17]
.LBB4_1018:                             ;   in Loop: Header=BB4_1019 Depth=1
	s_or_b64 exec, exec, s[14:15]
	s_and_b64 s[14:15], exec, s[12:13]
	s_or_b64 s[10:11], s[14:15], s[10:11]
	s_andn2_b64 exec, exec, s[10:11]
	s_cbranch_execz .LBB4_1024
.LBB4_1019:                             ; =>This Inner Loop Header: Depth=1
	flat_load_dwordx2 v[4:5], v[2:3] glc
	s_waitcnt vmcnt(0)
	s_or_b64 s[12:13], s[12:13], exec
	s_waitcnt lgkmcnt(0)
	v_cmp_ne_u64_e32 vcc, -1, v[4:5]
	s_and_saveexec_b64 s[14:15], vcc
	s_cbranch_execz .LBB4_1018
; %bb.1020:                             ;   in Loop: Header=BB4_1019 Depth=1
	v_and_b32_e32 v1, 64, v62
	v_cmp_eq_u32_e32 vcc, 0, v1
	s_mov_b64 s[18:19], 0
	s_and_saveexec_b64 s[16:17], vcc
	s_cbranch_execz .LBB4_1017
; %bb.1021:                             ;   in Loop: Header=BB4_1019 Depth=1
	v_add_u32_e32 v1, 1, v0
	v_cmp_lt_i32_e32 vcc, s24, v0
	s_mov_b64 s[20:21], -1
	s_and_saveexec_b64 s[18:19], vcc
	s_cbranch_execz .LBB4_1016
; %bb.1022:                             ;   in Loop: Header=BB4_1019 Depth=1
	s_trap 2
	ds_read_b64 v[0:1], v0
	s_waitcnt lgkmcnt(0)
	flat_load_dword v0, v[0:1] glc
	s_waitcnt vmcnt(0) lgkmcnt(0)
	buffer_invl2
	buffer_wbinvl1_vol
	v_cmp_ne_u32_e32 vcc, 0, v0
	s_and_saveexec_b64 s[22:23], vcc
	s_cbranch_execz .LBB4_1015
; %bb.1023:                             ;   in Loop: Header=BB4_1019 Depth=1
	v_or_b32_e32 v62, 64, v62
	s_xor_b64 s[20:21], exec, -1
	ds_write_b32 v0, v0
	s_trap 2
	s_branch .LBB4_1015
.LBB4_1024:
	s_or_b64 exec, exec, s[10:11]
.LBB4_1025:
	s_or_b64 exec, exec, s[6:7]
	v_and_b32_e32 v0, 0x2000, v62
	v_cmp_ne_u32_e32 vcc, 0, v0
	s_and_saveexec_b64 s[6:7], vcc
	s_cbranch_execz .LBB4_1027
; %bb.1026:
	s_trap 2
	ds_read_b64 v[0:1], v0
	v_accvgpr_read_b32 v2, a16
	v_accvgpr_read_b32 v3, a17
	s_waitcnt lgkmcnt(0)
	flat_store_dwordx2 v[2:3], v[0:1] offset:16
.LBB4_1027:
	s_or_b64 exec, exec, s[6:7]
	v_cmp_ne_u32_e32 vcc, 64, v24
	s_and_b64 exec, exec, vcc
	s_cbranch_execz .LBB4_1045
; %bb.1028:
	v_cmp_ne_u32_sdwa s[6:7], v17, v24 src0_sel:WORD_0 src1_sel:DWORD
	s_and_saveexec_b64 s[10:11], s[6:7]
	s_xor_b64 s[6:7], exec, s[10:11]
	s_cbranch_execz .LBB4_1043
; %bb.1029:
	v_and_b32_e32 v0, 63, v31
	v_cmp_eq_u32_e32 vcc, 0, v0
	s_and_saveexec_b64 s[10:11], vcc
	s_cbranch_execz .LBB4_1042
; %bb.1030:
	s_mov_b64 s[14:15], exec
	v_mbcnt_lo_u32_b32 v0, s14, 0
	v_mbcnt_hi_u32_b32 v0, s15, v0
	v_cmp_eq_u32_e32 vcc, 0, v0
	s_waitcnt vmcnt(0) lgkmcnt(0)
	buffer_wbinvl1_vol
	s_and_saveexec_b64 s[12:13], vcc
	s_cbranch_execz .LBB4_1032
; %bb.1031:
	s_bcnt1_i32_b64 s14, s[14:15]
	v_mov_b32_e32 v0, s14
	v_mov_b32_e32 v1, 0
	ds_add_u64 v0, v[0:1]
	s_trap 2
.LBB4_1032:
	s_or_b64 exec, exec, s[12:13]
	v_ashrrev_i32_e32 v0, 31, v24
	v_lshrrev_b32_e32 v0, 26, v0
	v_add_u32_e32 v0, v24, v0
	v_ashrrev_i32_e32 v0, 6, v0
	s_trap 2
	ds_read_b64 v[2:3], v0
	v_ashrrev_i32_e32 v1, 31, v0
	v_add_co_u32_e32 v0, vcc, v34, v0
	v_addc_co_u32_e32 v1, vcc, v35, v1, vcc
	s_waitcnt lgkmcnt(0)
	v_cmp_lt_u64_e32 vcc, v[2:3], v[0:1]
	s_and_saveexec_b64 s[12:13], vcc
	s_cbranch_execz .LBB4_1041
; %bb.1033:
	s_mov_b32 s26, 0
	s_mov_b64 s[14:15], 0
                                        ; implicit-def: $sgpr16_sgpr17
                                        ; implicit-def: $sgpr18_sgpr19
	s_branch .LBB4_1035
.LBB4_1034:                             ;   in Loop: Header=BB4_1035 Depth=1
	s_or_b64 exec, exec, s[24:25]
	s_and_b64 s[20:21], exec, s[22:23]
	s_or_b64 s[14:15], s[20:21], s[14:15]
	s_andn2_b64 s[16:17], s[16:17], exec
	s_and_b64 s[20:21], s[18:19], exec
	s_or_b64 s[16:17], s[16:17], s[20:21]
	s_andn2_b64 exec, exec, s[14:15]
	s_cbranch_execz .LBB4_1039
.LBB4_1035:                             ; =>This Inner Loop Header: Depth=1
	s_add_i32 s26, s26, 1
	s_cmpk_lg_i32 s26, 0x2710
	s_cselect_b64 s[20:21], -1, 0
	s_and_b64 vcc, exec, s[20:21]
                                        ; implicit-def: $sgpr24_sgpr25
	s_cbranch_vccnz .LBB4_1037
; %bb.1036:                             ;   in Loop: Header=BB4_1035 Depth=1
	s_trap 2
	ds_read_b64 v[2:3], v0
	s_andn2_b64 s[20:21], s[20:21], exec
	s_mov_b32 s26, 0
	s_mov_b64 s[24:25], -1
	s_waitcnt lgkmcnt(0)
	flat_load_dword v2, v[2:3] glc
	s_waitcnt vmcnt(0) lgkmcnt(0)
	buffer_invl2
	buffer_wbinvl1_vol
	v_cmp_eq_u32_e32 vcc, 0, v2
	s_and_b64 s[22:23], vcc, exec
	s_or_b64 s[20:21], s[20:21], s[22:23]
.LBB4_1037:                             ;   in Loop: Header=BB4_1035 Depth=1
	s_andn2_b64 s[18:19], s[18:19], exec
	s_and_b64 s[24:25], s[24:25], exec
	s_mov_b64 s[22:23], -1
	s_or_b64 s[18:19], s[18:19], s[24:25]
	s_and_saveexec_b64 s[24:25], s[20:21]
	s_cbranch_execz .LBB4_1034
; %bb.1038:                             ;   in Loop: Header=BB4_1035 Depth=1
	s_sleep 1
	s_trap 2
	ds_read_b64 v[2:3], v0
	s_andn2_b64 s[18:19], s[18:19], exec
	s_waitcnt lgkmcnt(0)
	v_cmp_ge_u64_e32 vcc, v[2:3], v[0:1]
	s_orn2_b64 s[22:23], vcc, exec
	s_branch .LBB4_1034
.LBB4_1039:
	s_or_b64 exec, exec, s[14:15]
	s_and_saveexec_b64 s[14:15], s[16:17]
	s_xor_b64 s[14:15], exec, s[14:15]
	s_cbranch_execz .LBB4_1041
; %bb.1040:
	v_mov_b32_e32 v0, 1
	ds_write_b32 v0, v0
	s_trap 2
.LBB4_1041:
	s_or_b64 exec, exec, s[12:13]
	;;#ASMSTART
	s_wakeup
	;;#ASMEND
.LBB4_1042:
	s_or_b64 exec, exec, s[10:11]
.LBB4_1043:
	s_andn2_saveexec_b64 s[6:7], s[6:7]
	s_cbranch_execz .LBB4_1045
; %bb.1044:
	s_waitcnt vmcnt(0) lgkmcnt(0)
	buffer_wbinvl1_vol
	s_barrier
.LBB4_1045:
	s_or_b64 exec, exec, s[4:5]
.LBB4_1046:
	s_andn2_saveexec_b64 s[26:27], s[40:41]
	s_cbranch_execz .LBB4_1048
; %bb.1047:
	s_getpc_b64 s[4:5]
	s_add_u32 s4, s4, __PRETTY_FUNCTION__._ZN10PrimitivesIa7FuncSumIaE12FanSymmetricILi1EELi0E11ProtoSimpleILi2ELi2ELi0ELi1ELi0ELi0EELi0ELb0ELi0ELi0ELi0EEC2EiiPKiS8_PKvPvmhhhP15ncclDevWorkCollP14ncclDevWorkP2pii@rel32@lo+4
	s_addc_u32 s5, s5, __PRETTY_FUNCTION__._ZN10PrimitivesIa7FuncSumIaE12FanSymmetricILi1EELi0E11ProtoSimpleILi2ELi2ELi0ELi1ELi0ELi0EELi0ELb0ELi0ELi0ELi0EEC2EiiPKiS8_PKvPvmhhhP15ncclDevWorkCollP14ncclDevWorkP2pii@rel32@hi+12
	v_mov_b32_e32 v0, s4
	v_mov_b32_e32 v1, s5
	s_getpc_b64 s[6:7]
	s_add_u32 s6, s6, __assert_fail@rel32@lo+4
	s_addc_u32 s7, s7, __assert_fail@rel32@hi+12
	s_swappc_b64 s[30:31], s[6:7]
	; divergent unreachable
.LBB4_1048:
	s_or_b64 exec, exec, s[26:27]
.LBB4_1049:
	s_or_b64 exec, exec, s[38:39]
	buffer_load_dword v62, off, s[0:3], s33 ; 4-byte Folded Reload
	buffer_load_dword v61, off, s[0:3], s33 offset:4 ; 4-byte Folded Reload
	buffer_load_dword v60, off, s[0:3], s33 offset:8 ; 4-byte Folded Reload
	;; [unrolled: 1-line block ×11, first 2 shown]
	v_readlane_b32 s30, v63, 44
	v_readlane_b32 s31, v63, 45
	v_readlane_b32 s77, v63, 43
	v_readlane_b32 s76, v63, 42
	v_readlane_b32 s75, v63, 41
	v_readlane_b32 s74, v63, 40
	v_readlane_b32 s73, v63, 39
	v_readlane_b32 s72, v63, 38
	v_readlane_b32 s71, v63, 37
	v_readlane_b32 s70, v63, 36
	v_readlane_b32 s69, v63, 35
	v_readlane_b32 s68, v63, 34
	v_readlane_b32 s67, v63, 33
	v_readlane_b32 s66, v63, 32
	v_readlane_b32 s65, v63, 31
	v_readlane_b32 s64, v63, 30
	v_readlane_b32 s63, v63, 29
	v_readlane_b32 s62, v63, 28
	v_readlane_b32 s61, v63, 27
	v_readlane_b32 s60, v63, 26
	v_readlane_b32 s59, v63, 25
	v_readlane_b32 s58, v63, 24
	v_readlane_b32 s57, v63, 23
	v_readlane_b32 s56, v63, 22
	v_readlane_b32 s55, v63, 21
	v_readlane_b32 s54, v63, 20
	v_readlane_b32 s53, v63, 19
	v_readlane_b32 s52, v63, 18
	v_readlane_b32 s51, v63, 17
	v_readlane_b32 s50, v63, 16
	v_readlane_b32 s49, v63, 15
	v_readlane_b32 s48, v63, 14
	v_readlane_b32 s47, v63, 13
	v_readlane_b32 s46, v63, 12
	v_readlane_b32 s45, v63, 11
	v_readlane_b32 s44, v63, 10
	v_readlane_b32 s43, v63, 9
	v_readlane_b32 s42, v63, 8
	v_readlane_b32 s41, v63, 7
	v_readlane_b32 s40, v63, 6
	v_readlane_b32 s39, v63, 5
	v_readlane_b32 s38, v63, 4
	v_readlane_b32 s37, v63, 3
	v_readlane_b32 s36, v63, 2
	v_readlane_b32 s35, v63, 1
	v_readlane_b32 s34, v63, 0
	v_accvgpr_read_b32 v42, a31             ;  Reload Reuse
	v_accvgpr_read_b32 v41, a30             ;  Reload Reuse
	;; [unrolled: 1-line block ×3, first 2 shown]
	v_readlane_b32 s4, v63, 46
	s_or_saveexec_b64 s[6:7], -1
	buffer_load_dword v63, off, s[0:3], s33 offset:48 ; 4-byte Folded Reload
	s_mov_b64 exec, s[6:7]
	s_addk_i32 s32, 0xf000
	s_mov_b32 s33, s4
	s_waitcnt vmcnt(0) lgkmcnt(0)
	s_setpc_b64 s[30:31]
.Lfunc_end4:
	.size	_ZN12_GLOBAL__N_17runRingIa7FuncSumIaE11ProtoSimpleILi2ELi2ELi0ELi1ELi0ELi0EELi0ELi1ELi0ELb0EEEviiP15ncclDevWorkColl, .Lfunc_end4-_ZN12_GLOBAL__N_17runRingIa7FuncSumIaE11ProtoSimpleILi2ELi2ELi0ELi1ELi0ELi0EELi0ELi1ELi0ELb0EEEviiP15ncclDevWorkColl
                                        ; -- End function
	.section	.AMDGPU.csdata,"",@progbits
; Function info:
; codeLenInByte = 30688
; NumSgprs: 82
; NumVgprs: 64
; NumAgprs: 32
; TotalNumVgprs: 96
; ScratchSize: 128
; MemoryBound: 0
	.text
	.p2align	2                               ; -- Begin function _Z46ncclDevFunc_AllGather_RING_SIMPLE_Sum_i8_0_0_1v
	.type	_Z46ncclDevFunc_AllGather_RING_SIMPLE_Sum_i8_0_0_1v,@function
_Z46ncclDevFunc_AllGather_RING_SIMPLE_Sum_i8_0_0_1v: ; @_Z46ncclDevFunc_AllGather_RING_SIMPLE_Sum_i8_0_0_1v
; %bb.0:
	s_waitcnt vmcnt(0) expcnt(0) lgkmcnt(0)
	s_mov_b32 s4, s33
	s_mov_b32 s33, s32
	s_or_saveexec_b64 s[6:7], -1
	buffer_store_dword v43, off, s[0:3], s33 offset:16 ; 4-byte Folded Spill
	s_mov_b64 exec, s[6:7]
	v_writelane_b32 v43, s4, 54
	s_addk_i32 s32, 0x800
	buffer_store_dword v40, off, s[0:3], s33 offset:12 ; 4-byte Folded Spill
	buffer_store_dword v41, off, s[0:3], s33 offset:8 ; 4-byte Folded Spill
	;; [unrolled: 1-line block ×3, first 2 shown]
	buffer_store_dword v63, off, s[0:3], s33 ; 4-byte Folded Spill
	v_writelane_b32 v43, s34, 0
	v_writelane_b32 v43, s35, 1
	;; [unrolled: 1-line block ×54, first 2 shown]
	s_trap 2
	ds_read_b32 v0, v0
	v_mov_b32_e32 v40, v31
	s_mov_b32 s80, s12
	s_mov_b64 s[78:79], s[8:9]
	s_waitcnt lgkmcnt(0)
	v_cmp_gt_i32_e32 vcc, 1, v0
	s_cbranch_vccnz .LBB5_8
; %bb.1:
	s_mov_b32 s81, 0
	v_and_b32_e32 v41, 0x3ff, v40
	s_mov_b64 s[82:83], src_shared_base
	v_mov_b32_e32 v42, 6
	s_branch .LBB5_3
.LBB5_2:                                ;   in Loop: Header=BB5_3 Depth=1
	s_or_b64 exec, exec, s[84:85]
	s_trap 2
	ds_read_b32 v0, v0
	s_add_i32 s81, s81, 1
	s_waitcnt lgkmcnt(0)
	v_cmp_lt_i32_e32 vcc, s81, v0
	s_cbranch_vccz .LBB5_8
.LBB5_3:                                ; =>This Inner Loop Header: Depth=1
	s_trap 2
	ds_read_b32 v0, v0
	s_cmp_eq_u32 s81, 0
	s_cbranch_scc1 .LBB5_6
; %bb.4:                                ;   in Loop: Header=BB5_3 Depth=1
	s_trap 2
	s_waitcnt lgkmcnt(0)
	ds_read_b32 v1, v0
	s_waitcnt lgkmcnt(0)
	v_xor_b32_e32 v1, v1, v0
	v_and_b32_e32 v1, 0xff0000, v1
	v_cmp_eq_u32_e32 vcc, 0, v1
	s_cbranch_vccnz .LBB5_6
; %bb.5:                                ;   in Loop: Header=BB5_3 Depth=1
	s_barrier
	ds_read_b32 v0, v0
.LBB5_6:                                ;   in Loop: Header=BB5_3 Depth=1
	s_waitcnt lgkmcnt(0)
	v_lshlrev_b32_sdwa v1, v42, v0 dst_sel:DWORD dst_unused:UNUSED_PAD src0_sel:DWORD src1_sel:BYTE_2
	v_cmp_lt_u32_e32 vcc, v41, v1
	s_and_saveexec_b64 s[84:85], vcc
	s_cbranch_execz .LBB5_2
; %bb.7:                                ;   in Loop: Header=BB5_3 Depth=1
	s_mov_b64 s[8:9], s[78:79]
	s_mov_b32 s12, s80
	v_mov_b32_e32 v31, v40
	v_mov_b32_e32 v0, v41
	v_mov_b32_e32 v3, s83
	s_getpc_b64 s[4:5]
	s_add_u32 s4, s4, _ZN12_GLOBAL__N_17runRingIa7FuncSumIaE11ProtoSimpleILi2ELi2ELi0ELi1ELi0ELi0EELi0ELi1ELi0ELb0EEEviiP15ncclDevWorkColl@rel32@lo+4
	s_addc_u32 s5, s5, _ZN12_GLOBAL__N_17runRingIa7FuncSumIaE11ProtoSimpleILi2ELi2ELi0ELi1ELi0ELi0EELi0ELi1ELi0ELb0EEEviiP15ncclDevWorkColl@rel32@hi+12
	s_swappc_b64 s[30:31], s[4:5]
	s_branch .LBB5_2
.LBB5_8:
	buffer_load_dword v63, off, s[0:3], s33 ; 4-byte Folded Reload
	buffer_load_dword v42, off, s[0:3], s33 offset:4 ; 4-byte Folded Reload
	buffer_load_dword v41, off, s[0:3], s33 offset:8 ; 4-byte Folded Reload
	;; [unrolled: 1-line block ×3, first 2 shown]
	v_readlane_b32 s30, v43, 52
	v_readlane_b32 s31, v43, 53
	;; [unrolled: 1-line block ×55, first 2 shown]
	s_or_saveexec_b64 s[6:7], -1
	buffer_load_dword v43, off, s[0:3], s33 offset:16 ; 4-byte Folded Reload
	s_mov_b64 exec, s[6:7]
	s_addk_i32 s32, 0xf800
	s_mov_b32 s33, s4
	s_waitcnt vmcnt(0)
	s_setpc_b64 s[30:31]
.Lfunc_end5:
	.size	_Z46ncclDevFunc_AllGather_RING_SIMPLE_Sum_i8_0_0_1v, .Lfunc_end5-_Z46ncclDevFunc_AllGather_RING_SIMPLE_Sum_i8_0_0_1v
                                        ; -- End function
	.section	.AMDGPU.csdata,"",@progbits
; Function info:
; codeLenInByte = 1244
; NumSgprs: 90
; NumVgprs: 64
; NumAgprs: 32
; TotalNumVgprs: 96
; ScratchSize: 160
; MemoryBound: 0
	.text
	.p2align	2                               ; -- Begin function _Z41ncclDevFunc_AllGather_PAT_LL_Sum_i8_0_0_1v
	.type	_Z41ncclDevFunc_AllGather_PAT_LL_Sum_i8_0_0_1v,@function
_Z41ncclDevFunc_AllGather_PAT_LL_Sum_i8_0_0_1v: ; @_Z41ncclDevFunc_AllGather_PAT_LL_Sum_i8_0_0_1v
; %bb.0:
	s_waitcnt vmcnt(0) expcnt(0) lgkmcnt(0)
	s_trap 2
	ds_read_b32 v0, v0
	s_waitcnt lgkmcnt(0)
	v_cmp_gt_i32_e32 vcc, 1, v0
	s_cbranch_vccnz .LBB6_6
; %bb.1:
	s_mov_b32 s4, 0
	s_branch .LBB6_3
.LBB6_2:                                ;   in Loop: Header=BB6_3 Depth=1
	s_add_i32 s4, s4, 1
	s_waitcnt lgkmcnt(0)
	v_cmp_lt_i32_e32 vcc, s4, v0
	s_cbranch_vccz .LBB6_6
.LBB6_3:                                ; =>This Inner Loop Header: Depth=1
	s_cmp_eq_u32 s4, 0
	s_cbranch_scc1 .LBB6_2
; %bb.4:                                ;   in Loop: Header=BB6_3 Depth=1
	s_trap 2
	ds_read_b32 v1, v0
	s_waitcnt lgkmcnt(0)
	v_xor_b32_e32 v1, v1, v1
	v_and_b32_e32 v1, 0xff0000, v1
	v_cmp_eq_u32_e32 vcc, 0, v1
	s_cbranch_vccnz .LBB6_2
; %bb.5:                                ;   in Loop: Header=BB6_3 Depth=1
	s_barrier
	s_trap 2
	ds_read_b32 v0, v0
	s_branch .LBB6_2
.LBB6_6:
	s_setpc_b64 s[30:31]
.Lfunc_end6:
	.size	_Z41ncclDevFunc_AllGather_PAT_LL_Sum_i8_0_0_1v, .Lfunc_end6-_Z41ncclDevFunc_AllGather_PAT_LL_Sum_i8_0_0_1v
                                        ; -- End function
	.section	.AMDGPU.csdata,"",@progbits
; Function info:
; codeLenInByte = 120
; NumSgprs: 36
; NumVgprs: 2
; NumAgprs: 0
; TotalNumVgprs: 2
; ScratchSize: 0
; MemoryBound: 0
	.text
	.p2align	2                               ; -- Begin function _Z45ncclDevFunc_AllGather_PAT_SIMPLE_Sum_i8_0_0_1v
	.type	_Z45ncclDevFunc_AllGather_PAT_SIMPLE_Sum_i8_0_0_1v,@function
_Z45ncclDevFunc_AllGather_PAT_SIMPLE_Sum_i8_0_0_1v: ; @_Z45ncclDevFunc_AllGather_PAT_SIMPLE_Sum_i8_0_0_1v
; %bb.0:
	s_waitcnt vmcnt(0) expcnt(0) lgkmcnt(0)
	s_or_saveexec_b64 s[4:5], -1
	buffer_store_dword v63, off, s[0:3], s32 offset:344 ; 4-byte Folded Spill
	s_mov_b64 exec, s[4:5]
	v_accvgpr_write_b32 a4, v40             ;  Reload Reuse
	v_accvgpr_write_b32 a5, v41             ;  Reload Reuse
	;; [unrolled: 1-line block ×6, first 2 shown]
	v_accvgpr_write_b32 a10, v46            ;  Reload Reuse
	v_accvgpr_write_b32 a11, v47            ;  Reload Reuse
	;; [unrolled: 1-line block ×9, first 2 shown]
	v_writelane_b32 v63, s34, 0
	v_writelane_b32 v63, s35, 1
	;; [unrolled: 1-line block ×40, first 2 shown]
	s_trap 2
	ds_read_b32 v0, v0
	s_waitcnt lgkmcnt(0)
	v_cmp_gt_i32_e32 vcc, 1, v0
	s_cbranch_vccnz .LBB7_387
; %bb.1:
	s_load_dword s4, s[8:9], 0x0
	v_mov_b32_e32 v4, 0
	v_and_b32_e32 v6, 0x3ff, v31
	v_and_b32_e32 v0, 63, v6
	s_mov_b32 s30, 0
	s_waitcnt lgkmcnt(0)
	s_cmp_lt_u32 s12, s4
	s_cselect_b32 s4, 12, 18
	s_add_u32 s4, s8, s4
	s_addc_u32 s5, s9, 0
	global_load_ushort a0, v4, s[4:5]
	s_movk_i32 s12, 0x80
	v_accvgpr_write_b32 a1, v0
	v_cmp_eq_u32_e64 s[14:15], 0, v0
	v_lshrrev_b32_e64 v0, 6, s32
	s_mov_b64 s[34:35], src_shared_base
	s_brev_b32 s31, 1
	v_cmp_gt_u32_e64 s[4:5], 32, v6
	v_cmp_eq_u32_e64 s[6:7], 0, v6
	v_cmp_eq_u32_e64 s[8:9], s12, v6
	v_cmp_ne_u32_e64 s[10:11], s12, v6
	v_cmp_gt_u32_e64 s[12:13], s12, v6
	v_add_u32_e32 v21, 0x58, v0
	s_movk_i32 s64, 0xe00
	v_mov_b32_e32 v48, 1
	s_movk_i32 s34, 0x270e
	s_movk_i32 s65, 0x88
	v_mov_b32_e32 v49, 2
	v_mov_b32_e32 v50, -1
	s_movk_i32 s66, 0x1f8
	s_movk_i32 s67, 0x400
	;; [unrolled: 1-line block ×3, first 2 shown]
	s_mov_b32 s69, s30
	s_trap 2
	s_branch .LBB7_4
.LBB7_2:                                ;   in Loop: Header=BB7_4 Depth=1
	s_or_b64 exec, exec, s[26:27]
.LBB7_3:                                ;   in Loop: Header=BB7_4 Depth=1
	s_or_b64 exec, exec, s[36:37]
	s_trap 2
	ds_read_b32 v0, v0
	s_add_i32 s69, s69, 1
	s_waitcnt lgkmcnt(0)
	v_cmp_lt_i32_e32 vcc, s69, v0
	s_cbranch_vccz .LBB7_387
.LBB7_4:                                ; =>This Loop Header: Depth=1
                                        ;     Child Loop BB7_18 Depth 2
                                        ;     Child Loop BB7_26 Depth 2
	;; [unrolled: 1-line block ×4, first 2 shown]
                                        ;       Child Loop BB7_54 Depth 3
                                        ;       Child Loop BB7_63 Depth 3
	;; [unrolled: 1-line block ×12, first 2 shown]
                                        ;     Child Loop BB7_230 Depth 2
                                        ;     Child Loop BB7_241 Depth 2
                                        ;     Child Loop BB7_255 Depth 2
                                        ;     Child Loop BB7_269 Depth 2
                                        ;     Child Loop BB7_273 Depth 2
                                        ;     Child Loop BB7_278 Depth 2
                                        ;     Child Loop BB7_287 Depth 2
                                        ;       Child Loop BB7_288 Depth 3
                                        ;       Child Loop BB7_350 Depth 3
	;; [unrolled: 1-line block ×5, first 2 shown]
	s_trap 2
	ds_read_b32 v12, v0
	s_cmp_eq_u32 s69, 0
	s_cbranch_scc1 .LBB7_7
; %bb.5:                                ;   in Loop: Header=BB7_4 Depth=1
	s_trap 2
	ds_read_b32 v0, v0
	s_waitcnt lgkmcnt(0)
	v_xor_b32_e32 v0, v0, v12
	v_and_b32_e32 v0, 0xff0000, v0
	v_cmp_eq_u32_e32 vcc, 0, v0
	s_cbranch_vccnz .LBB7_7
; %bb.6:                                ;   in Loop: Header=BB7_4 Depth=1
	s_barrier
	s_trap 2
	ds_read_b32 v12, v0
.LBB7_7:                                ;   in Loop: Header=BB7_4 Depth=1
	s_waitcnt lgkmcnt(0)
	v_bfe_u32 v7, v12, 16, 8
	v_lshlrev_b32_e32 v5, 6, v7
	v_cmp_lt_u32_e32 vcc, v6, v5
	s_and_saveexec_b64 s[36:37], vcc
	s_cbranch_execz .LBB7_3
; %bb.8:                                ;   in Loop: Header=BB7_4 Depth=1
	s_trap 2
	ds_read_b64 v[8:9], v0
	ds_read_b32 v13, v0
	ds_read2_b64 v[0:3], v0 offset1:1
	v_not_b32_sdwa v14, v12 dst_sel:DWORD dst_unused:UNUSED_PAD src0_sel:BYTE_0
	v_add_u32_sdwa v10, v12, v14 dst_sel:DWORD dst_unused:UNUSED_PAD src0_sel:BYTE_1 src1_sel:DWORD
	v_ashrrev_i32_e32 v11, 31, v10
	s_waitcnt lgkmcnt(0)
	v_cmp_ne_u32_sdwa s[16:17], v12, v13 src0_sel:BYTE_0 src1_sel:DWORD
	s_waitcnt lgkmcnt(0)
	v_mul_lo_u32 v11, v2, v11
	v_mul_hi_u32 v15, v2, v10
	v_add_u32_e32 v11, v15, v11
	v_mul_lo_u32 v15, v3, v10
	v_mul_lo_u32 v10, v2, v10
	v_add_u32_e32 v11, v11, v15
	s_and_b64 vcc, exec, s[16:17]
	v_add_co_u32_e64 v10, s[16:17], v10, v0
	v_readfirstlane_b32 s71, v8
	v_readfirstlane_b32 s70, v9
	v_addc_co_u32_e64 v11, s[16:17], v11, v1, s[16:17]
	s_cbranch_vccz .LBB7_11
; %bb.9:                                ;   in Loop: Header=BB7_4 Depth=1
	v_cmp_ne_u32_sdwa s[16:17], v12, v13 src0_sel:BYTE_1 src1_sel:DWORD
	s_and_b64 vcc, exec, s[16:17]
	s_cbranch_vccz .LBB7_12
; %bb.10:                               ;   in Loop: Header=BB7_4 Depth=1
	v_add_u32_e32 v12, v13, v14
	v_ashrrev_i32_e32 v13, 31, v12
	v_mul_lo_u32 v13, v2, v13
	v_mul_hi_u32 v14, v2, v12
	v_add_u32_e32 v13, v14, v13
	v_mul_lo_u32 v14, v3, v12
	v_add_u32_e32 v13, v13, v14
	s_trap 2
	ds_read_b64 v[14:15], v0
	v_mul_lo_u32 v12, v2, v12
	v_add_co_u32_e32 v12, vcc, v12, v0
	v_addc_co_u32_e32 v13, vcc, v13, v1, vcc
	s_waitcnt lgkmcnt(0)
	v_lshrrev_b64 v[14:15], 12, v[14:15]
	s_cbranch_execz .LBB7_13
	s_branch .LBB7_14
.LBB7_11:                               ;   in Loop: Header=BB7_4 Depth=1
                                        ; implicit-def: $vgpr14_vgpr15
                                        ; implicit-def: $vgpr12_vgpr13
	s_branch .LBB7_15
.LBB7_12:                               ;   in Loop: Header=BB7_4 Depth=1
                                        ; implicit-def: $vgpr14_vgpr15
                                        ; implicit-def: $vgpr12_vgpr13
.LBB7_13:                               ;   in Loop: Header=BB7_4 Depth=1
	s_trap 2
	ds_read_b32 v2, v0
	v_pk_mov_b32 v[12:13], v[10:11], v[10:11] op_sel:[0,1]
	s_waitcnt lgkmcnt(0)
	v_lshrrev_b32_e32 v14, 1, v2
	v_pk_mov_b32 v[2:3], v[8:9], v[8:9] op_sel:[0,1]
.LBB7_14:                               ;   in Loop: Header=BB7_4 Depth=1
	s_cbranch_execnz .LBB7_16
.LBB7_15:                               ;   in Loop: Header=BB7_4 Depth=1
	s_trap 2
	ds_read_b64 v[2:3], v0
	v_pk_mov_b32 v[12:13], 0, 0
	s_waitcnt lgkmcnt(0)
	v_lshlrev_b64 v[14:15], 9, v[2:3]
	v_pk_mov_b32 v[2:3], v[0:1], v[0:1] op_sel:[0,1]
.LBB7_16:                               ;   in Loop: Header=BB7_4 Depth=1
	s_barrier
	s_and_saveexec_b64 s[16:17], s[4:5]
	s_cbranch_execz .LBB7_19
; %bb.17:                               ;   in Loop: Header=BB7_4 Depth=1
	v_mul_lo_u32 v0, v7, s64
	s_mov_b64 s[18:19], 0
	v_mov_b32_e32 v7, v6
                                        ; implicit-def: $vgpr1
.LBB7_18:                               ;   Parent Loop BB7_4 Depth=1
                                        ; =>  This Inner Loop Header: Depth=2
	v_add_u32_e32 v7, v7, v5
	v_cmp_lt_u32_e32 vcc, 31, v7
	ds_write_b32 v1, v4
	s_or_b64 s[18:19], vcc, s[18:19]
	v_add_u32_e32 v1, v1, v0
	s_andn2_b64 exec, exec, s[18:19]
	s_cbranch_execnz .LBB7_18
.LBB7_19:                               ;   in Loop: Header=BB7_4 Depth=1
	s_or_b64 exec, exec, s[16:17]
	s_and_saveexec_b64 s[16:17], s[6:7]
	s_cbranch_execz .LBB7_21
; %bb.20:                               ;   in Loop: Header=BB7_4 Depth=1
	v_mov_b32_e32 v5, v4
	ds_write_b64 v0, v[4:5]
	s_trap 2
.LBB7_21:                               ;   in Loop: Header=BB7_4 Depth=1
	s_or_b64 exec, exec, s[16:17]
	s_and_saveexec_b64 s[16:17], s[8:9]
	s_cbranch_execz .LBB7_23
; %bb.22:                               ;   in Loop: Header=BB7_4 Depth=1
	ds_write_b32 v0, v4
	s_trap 2
.LBB7_23:                               ;   in Loop: Header=BB7_4 Depth=1
	s_or_b64 exec, exec, s[16:17]
	s_waitcnt lgkmcnt(0)
	s_barrier
	s_and_saveexec_b64 s[16:17], s[10:11]
	s_xor_b64 s[38:39], exec, s[16:17]
	s_cbranch_execz .LBB7_252
; %bb.24:                               ;   in Loop: Header=BB7_4 Depth=1
	s_and_saveexec_b64 s[40:41], s[12:13]
	s_cbranch_execz .LBB7_251
; %bb.25:                               ;   in Loop: Header=BB7_4 Depth=1
	s_trap 2
	ds_read_b128 v[0:3], v0
	s_mov_b64 s[16:17], 0
.LBB7_26:                               ;   Parent Loop BB7_4 Depth=1
                                        ; =>  This Inner Loop Header: Depth=2
	v_mov_b32_e32 v5, v4
	s_trap 2
	flat_load_dword v5, v[4:5] glc
	s_waitcnt vmcnt(0) lgkmcnt(0)
	v_cmp_ne_u32_e32 vcc, 0, v5
	s_or_b64 s[16:17], vcc, s[16:17]
	s_andn2_b64 exec, exec, s[16:17]
	s_cbranch_execnz .LBB7_26
; %bb.27:                               ;   in Loop: Header=BB7_4 Depth=1
	s_or_b64 exec, exec, s[16:17]
	v_lshlrev_b32_e32 v7, 6, v5
	v_sub_u32_e32 v8, 0, v7
	v_max_i32_e32 v7, v7, v8
	v_cvt_f32_u32_e32 v8, v7
	v_sub_u32_e32 v9, 0, v7
	v_bfe_i32 v5, v5, 25, 1
	s_trap 2
	v_rcp_iflag_f32_e32 v8, v8
	ds_read_b64 v[14:15], v0
	v_mov_b32_e32 v51, 0x800
	v_mul_f32_e32 v8, 0x4f7ffffe, v8
	v_cvt_u32_f32_e32 v8, v8
	v_mul_lo_u32 v9, v9, v8
	v_mul_hi_u32 v9, v8, v9
	v_add_u32_e32 v8, v8, v9
	v_lshrrev_b32_e32 v8, 25, v8
	v_mul_lo_u32 v9, v8, v7
	v_sub_u32_e32 v9, 0x80, v9
	v_add_u32_e32 v10, 1, v8
	v_cmp_ge_u32_e32 vcc, v9, v7
	v_cndmask_b32_e32 v8, v8, v10, vcc
	v_sub_u32_e32 v10, v9, v7
	v_cndmask_b32_e32 v9, v9, v10, vcc
	v_add_u32_e32 v10, 1, v8
	v_cmp_ge_u32_e32 vcc, v9, v7
	v_cndmask_b32_e32 v7, v8, v10, vcc
	v_xor_b32_e32 v7, v7, v5
	v_sub_u32_e32 v8, v7, v5
	v_lshlrev_b32_e32 v10, 6, v8
	v_sub_u32_e32 v5, 0, v10
	v_max_i32_e32 v5, v10, v5
	v_cvt_f32_u32_e32 v7, v5
	v_sub_u32_e32 v11, 0, v5
	v_bfe_i32 v9, v8, 25, 1
	v_rcp_iflag_f32_e32 v7, v7
	v_mul_f32_e32 v7, 0x4f7ffffe, v7
	v_cvt_u32_f32_e32 v7, v7
	v_mul_lo_u32 v11, v11, v7
	v_mul_hi_u32 v11, v7, v11
	v_add_u32_e32 v11, v7, v11
	v_mul_hi_u32 v7, v6, v11
	v_mul_lo_u32 v12, v7, v5
	v_sub_u32_e32 v12, v6, v12
	v_add_u32_e32 v13, 1, v7
	v_cmp_ge_u32_e32 vcc, v12, v5
	v_cndmask_b32_e32 v7, v7, v13, vcc
	v_sub_u32_e32 v13, v12, v5
	v_cndmask_b32_e32 v12, v12, v13, vcc
	v_add_u32_e32 v13, 1, v7
	v_cmp_ge_u32_e32 vcc, v12, v5
	v_cndmask_b32_e32 v7, v7, v13, vcc
	v_xor_b32_e32 v7, v7, v9
	v_sub_u32_e32 v52, v7, v9
	v_mul_lo_u32 v7, v52, v10
	v_sub_u32_e32 v12, v6, v7
	v_cmp_gt_i32_e32 vcc, 5, v12
	v_ashrrev_i32_e32 v13, 31, v12
	s_and_saveexec_b64 s[16:17], vcc
	s_cbranch_execz .LBB7_29
; %bb.28:                               ;   in Loop: Header=BB7_4 Depth=1
	v_lshlrev_b64 v[16:17], 2, v[12:13]
	s_getpc_b64 s[18:19]
	s_add_u32 s18, s18, __const.Primitives.roles@rel32@lo+4
	s_addc_u32 s19, s19, __const.Primitives.roles@rel32@hi+12
	v_mov_b32_e32 v18, s19
	v_add_co_u32_e32 v16, vcc, s18, v16
	v_addc_co_u32_e32 v17, vcc, v17, v18, vcc
	global_load_dword v16, v[16:17], off
	s_waitcnt vmcnt(0)
	v_or_b32_e32 v51, 0x800, v16
.LBB7_29:                               ;   in Loop: Header=BB7_4 Depth=1
	s_or_b64 exec, exec, s[16:17]
	ds_read_b32 v16, v0
	v_lshlrev_b64 v[18:19], v12, 1
	v_cmp_gt_i32_e32 vcc, 32, v12
	s_trap 2
	s_waitcnt lgkmcnt(0)
	v_ashrrev_i32_e32 v17, 31, v16
	v_cmp_lt_u64_e64 s[16:17], v[18:19], v[16:17]
	s_and_b64 s[18:19], vcc, s[16:17]
	s_and_saveexec_b64 s[16:17], s[18:19]
	s_cbranch_execz .LBB7_31
; %bb.30:                               ;   in Loop: Header=BB7_4 Depth=1
	v_cvt_f32_u32_e32 v17, v16
	ds_read_b32 v20, v0
	v_sub_u32_e32 v22, 0, v16
	v_lshlrev_b32_e64 v30, v12, 1
	v_rcp_iflag_f32_e32 v17, v17
	s_trap 2
	s_waitcnt lgkmcnt(0)
	v_add_u32_e32 v23, v20, v30
	ds_read_b64 v[18:19], v0
	v_mul_f32_e32 v17, 0x4f7ffffe, v17
	v_cvt_u32_f32_e32 v17, v17
	v_sub_u32_e32 v30, v16, v30
	v_add_u32_e32 v20, v30, v20
	s_mov_b32 s18, s30
	v_mul_lo_u32 v22, v22, v17
	v_mul_hi_u32 v22, v17, v22
	v_add_u32_e32 v17, v17, v22
	v_mul_hi_u32 v22, v23, v17
	v_mul_lo_u32 v22, v22, v16
	v_sub_u32_e32 v22, v23, v22
	v_sub_u32_e32 v23, v22, v16
	v_cmp_ge_u32_e32 vcc, v22, v16
	v_cndmask_b32_e32 v22, v22, v23, vcc
	v_sub_u32_e32 v23, v22, v16
	v_cmp_ge_u32_e32 vcc, v22, v16
	v_cndmask_b32_e32 v22, v22, v23, vcc
	v_ashrrev_i32_e32 v23, 31, v22
	v_lshlrev_b64 v[22:23], 3, v[22:23]
	s_waitcnt lgkmcnt(0)
	v_add_co_u32_e32 v22, vcc, v18, v22
	v_addc_co_u32_e32 v23, vcc, v19, v23, vcc
	flat_load_dwordx2 v[26:27], v[22:23]
	v_mul_hi_u32 v17, v20, v17
	v_mul_lo_u32 v17, v17, v16
	v_sub_u32_e32 v17, v20, v17
	v_sub_u32_e32 v20, v17, v16
	s_mov_b32 s19, s30
	s_waitcnt vmcnt(0) lgkmcnt(0)
	v_add_co_u32_e32 v22, vcc, s66, v26
	v_addc_co_u32_e32 v23, vcc, 0, v27, vcc
	ds_write_b64 v0, v[22:23]
	flat_load_dwordx2 v[22:23], v[26:27] offset:520
	flat_load_dwordx2 v[28:29], v[26:27] offset:608
	v_cmp_ge_u32_e32 vcc, v17, v16
	v_cndmask_b32_e32 v17, v17, v20, vcc
	v_sub_u32_e32 v20, v17, v16
	v_cmp_ge_u32_e32 vcc, v17, v16
	v_cndmask_b32_e32 v16, v17, v20, vcc
	v_ashrrev_i32_e32 v17, 31, v16
	v_lshlrev_b64 v[16:17], 3, v[16:17]
	v_add_co_u32_e32 v16, vcc, v18, v16
	v_addc_co_u32_e32 v17, vcc, v19, v17, vcc
	s_waitcnt vmcnt(0) lgkmcnt(0)
	ds_write_b64 v0, v[22:23]
	flat_load_dwordx4 v[22:25], v[26:27] offset:552
	ds_write_b64 v0, v[28:29]
	s_waitcnt vmcnt(0) lgkmcnt(0)
	ds_write_b64 v0, v[22:23]
	flat_load_dwordx2 v[18:19], v[22:23] glc
	ds_write_b64 v0, v[24:25]
	flat_load_dwordx2 v[16:17], v[16:17]
	s_waitcnt vmcnt(0) lgkmcnt(0)
	flat_load_dwordx2 v[22:23], v[16:17] offset:104
	flat_load_dword v20, v[26:27] offset:576
	v_pk_mov_b32 v[26:27], s[18:19], s[18:19] op_sel:[0,1]
	s_waitcnt vmcnt(0) lgkmcnt(0)
	ds_write2_b64 v0, v[22:23], v[16:17] offset1:1
	flat_load_dwordx2 v[22:23], v[16:17] offset:96
	s_waitcnt vmcnt(0) lgkmcnt(0)
	ds_write_b64 v0, v[22:23]
	flat_load_dwordx2 v[22:23], v[16:17] offset:16
	flat_load_dwordx2 v[24:25], v[16:17] offset:56
	ds_write_b64 v0, v[26:27]
	ds_write_b64 v0, v[18:19]
	ds_write_b32 v0, v20
	s_waitcnt vmcnt(0) lgkmcnt(0)
	ds_write2_b64 v0, v[22:23], v[24:25] offset1:1
	flat_load_dwordx2 v[18:19], v[24:25] glc
	flat_load_dwordx2 v[22:23], v[16:17] offset:48
	s_waitcnt vmcnt(0) lgkmcnt(0)
	ds_write2_b64 v0, v[22:23], v[18:19] offset1:1
	flat_load_dword v16, v[16:17] offset:72
	ds_write_b64 v0, v[26:27]
	s_waitcnt vmcnt(0) lgkmcnt(0)
	ds_write_b32 v0, v16
.LBB7_31:                               ;   in Loop: Header=BB7_4 Depth=1
	s_or_b64 exec, exec, s[16:17]
	v_cmp_eq_u32_e32 vcc, 0, v12
	s_trap 2
	s_and_saveexec_b64 s[16:17], vcc
	s_cbranch_execz .LBB7_33
; %bb.32:                               ;   in Loop: Header=BB7_4 Depth=1
	ds_write2_b64 v0, v[2:3], v[0:1] offset0:14 offset1:15
	ds_write_b64 v0, v[14:15]
	s_trap 2
.LBB7_33:                               ;   in Loop: Header=BB7_4 Depth=1
	s_or_b64 exec, exec, s[16:17]
	v_accvgpr_read_b32 v0, a0
	v_cmp_ne_u32_e64 s[16:17], v10, v0
                                        ; implicit-def: $vgpr14_vgpr15
                                        ; implicit-def: $vgpr0
	s_and_saveexec_b64 s[18:19], s[16:17]
	s_xor_b64 s[18:19], exec, s[18:19]
	s_cbranch_execz .LBB7_49
; %bb.34:                               ;   in Loop: Header=BB7_4 Depth=1
	v_pk_mov_b32 v[14:15], 0, 0
	v_accvgpr_read_b32 v0, a1
	s_and_saveexec_b64 s[20:21], s[14:15]
	s_cbranch_execz .LBB7_48
; %bb.35:                               ;   in Loop: Header=BB7_4 Depth=1
	s_mov_b64 s[24:25], exec
	v_mbcnt_lo_u32_b32 v0, s24, 0
	v_mbcnt_hi_u32_b32 v0, s25, v0
	v_cmp_eq_u32_e32 vcc, 0, v0
	s_waitcnt lgkmcnt(0)
	buffer_wbinvl1_vol
	s_and_saveexec_b64 s[22:23], vcc
	s_cbranch_execz .LBB7_37
; %bb.36:                               ;   in Loop: Header=BB7_4 Depth=1
	s_bcnt1_i32_b64 s24, s[24:25]
	v_mov_b32_e32 v0, s24
	v_mov_b32_e32 v1, v4
	ds_add_u64 v0, v[0:1]
	s_trap 2
.LBB7_37:                               ;   in Loop: Header=BB7_4 Depth=1
	s_or_b64 exec, exec, s[22:23]
	s_trap 2
	ds_read_b64 v[0:1], v0
	s_waitcnt lgkmcnt(0)
	v_cmp_lt_u64_e32 vcc, 1, v[0:1]
	s_cbranch_vccnz .LBB7_47
; %bb.38:                               ;   in Loop: Header=BB7_4 Depth=1
	s_mov_b32 s44, 0
	s_mov_b64 s[22:23], 0
                                        ; implicit-def: $sgpr24_sgpr25
                                        ; implicit-def: $sgpr26_sgpr27
	s_branch .LBB7_40
.LBB7_39:                               ;   in Loop: Header=BB7_40 Depth=2
	s_or_b64 exec, exec, s[42:43]
	s_and_b64 s[28:29], exec, vcc
	s_or_b64 s[22:23], s[28:29], s[22:23]
	s_andn2_b64 s[24:25], s[24:25], exec
	s_and_b64 s[28:29], s[26:27], exec
	s_or_b64 s[24:25], s[24:25], s[28:29]
	s_andn2_b64 exec, exec, s[22:23]
	s_cbranch_execz .LBB7_44
.LBB7_40:                               ;   Parent Loop BB7_4 Depth=1
                                        ; =>  This Inner Loop Header: Depth=2
	s_add_i32 s44, s44, 1
	s_cmpk_lg_i32 s44, 0x2710
	s_cselect_b64 s[28:29], -1, 0
	s_and_b64 vcc, exec, s[28:29]
                                        ; implicit-def: $sgpr42_sgpr43
	s_cbranch_vccnz .LBB7_42
; %bb.41:                               ;   in Loop: Header=BB7_40 Depth=2
	s_trap 2
	ds_read_b64 v[0:1], v0
	s_andn2_b64 s[28:29], s[28:29], exec
	s_mov_b32 s44, 0
	s_mov_b64 s[42:43], -1
	s_waitcnt lgkmcnt(0)
	flat_load_dword v0, v[0:1] glc
	s_waitcnt vmcnt(0) lgkmcnt(0)
	buffer_invl2
	buffer_wbinvl1_vol
	v_cmp_eq_u32_e32 vcc, 0, v0
	s_and_b64 vcc, vcc, exec
	s_or_b64 s[28:29], s[28:29], vcc
.LBB7_42:                               ;   in Loop: Header=BB7_40 Depth=2
	s_andn2_b64 s[26:27], s[26:27], exec
	s_and_b64 s[42:43], s[42:43], exec
	s_mov_b64 vcc, -1
	s_or_b64 s[26:27], s[26:27], s[42:43]
	s_and_saveexec_b64 s[42:43], s[28:29]
	s_cbranch_execz .LBB7_39
; %bb.43:                               ;   in Loop: Header=BB7_40 Depth=2
	s_sleep 1
	s_trap 2
	ds_read_b64 v[0:1], v0
	s_andn2_b64 s[26:27], s[26:27], exec
	s_waitcnt lgkmcnt(0)
	v_cmp_lt_u64_e32 vcc, 1, v[0:1]
	s_orn2_b64 vcc, vcc, exec
	s_branch .LBB7_39
.LBB7_44:                               ;   in Loop: Header=BB7_4 Depth=1
	s_or_b64 exec, exec, s[22:23]
	s_and_saveexec_b64 s[22:23], s[24:25]
	s_xor_b64 s[22:23], exec, s[22:23]
	s_cbranch_execz .LBB7_46
; %bb.45:                               ;   in Loop: Header=BB7_4 Depth=1
	ds_write_b32 v0, v48
	s_trap 2
.LBB7_46:                               ;   in Loop: Header=BB7_4 Depth=1
	s_or_b64 exec, exec, s[22:23]
.LBB7_47:                               ;   in Loop: Header=BB7_4 Depth=1
	v_mov_b32_e32 v14, 2
	v_mov_b32_e32 v15, 0
	v_mov_b32_e32 v0, 0
	;;#ASMSTART
	s_wakeup
	;;#ASMEND
.LBB7_48:                               ;   in Loop: Header=BB7_4 Depth=1
	s_or_b64 exec, exec, s[20:21]
.LBB7_49:                               ;   in Loop: Header=BB7_4 Depth=1
	s_andn2_saveexec_b64 s[18:19], s[18:19]
	s_cbranch_execz .LBB7_51
; %bb.50:                               ;   in Loop: Header=BB7_4 Depth=1
	v_pk_mov_b32 v[14:15], 0, 0
	v_accvgpr_read_b32 v0, a1
	s_waitcnt lgkmcnt(0)
	buffer_wbinvl1_vol
	s_barrier
.LBB7_51:                               ;   in Loop: Header=BB7_4 Depth=1
	s_or_b64 exec, exec, s[18:19]
	v_lshrrev_b32_e32 v1, 25, v11
	v_mul_lo_u32 v2, v1, v5
	v_sub_u32_e32 v2, 0x80, v2
	v_add_u32_e32 v3, 1, v1
	v_cmp_ge_u32_e32 vcc, v2, v5
	v_cndmask_b32_e32 v1, v1, v3, vcc
	v_sub_u32_e32 v3, v2, v5
	v_cndmask_b32_e32 v2, v2, v3, vcc
	v_add_u32_e32 v3, 1, v1
	v_cmp_ge_u32_e32 vcc, v2, v5
	v_cndmask_b32_e32 v1, v1, v3, vcc
	v_cmp_eq_u32_e64 s[18:19], 0, v0
	v_lshrrev_b32_e32 v0, 26, v13
	v_xor_b32_e32 v1, v1, v9
	v_add_u32_e32 v0, v12, v0
	v_sub_u32_e32 v19, v1, v9
	v_and_b32_e32 v1, 0xffffffc0, v0
	v_ashrrev_i32_e32 v0, 6, v0
	v_sub_u32_e32 v53, 0, v0
	v_lshlrev_b32_e32 v0, 4, v12
	v_sub_u32_e32 v13, v12, v1
	v_ashrrev_i32_e32 v1, 31, v0
	v_accvgpr_write_b32 a3, v1
	v_lshlrev_b32_e32 v18, 10, v8
	v_accvgpr_write_b32 a2, v0
	v_add_u32_e32 v0, 0xfffffc00, v18
	v_ashrrev_i32_e32 v1, 31, v0
	v_add_co_u32_e32 v54, vcc, s67, v0
	v_lshlrev_b32_e32 v20, 9, v8
	v_addc_co_u32_e32 v55, vcc, 0, v1, vcc
	v_add_u32_e32 v0, 0xfffffe00, v20
	v_ashrrev_i32_e32 v1, 31, v0
	v_add_co_u32_e32 v40, vcc, s68, v0
	v_addc_co_u32_e32 v41, vcc, 0, v1, vcc
	v_subrev_u32_e32 v0, 64, v10
	v_ashrrev_i32_e32 v1, 31, v0
	v_add_co_u32_e32 v42, vcc, 64, v0
	v_cmp_gt_i32_e64 s[20:21], 1, v13
	v_addc_co_u32_e32 v43, vcc, 0, v1, vcc
	v_cmp_eq_u32_e64 s[22:23], v6, v7
	v_ashrrev_i32_e32 v5, 31, v18
	v_ashrrev_i32_e32 v7, 31, v20
	;; [unrolled: 1-line block ×3, first 2 shown]
	s_mov_b64 s[42:43], 0
	s_trap 2
                                        ; implicit-def: $vgpr22_vgpr23
	s_branch .LBB7_53
.LBB7_52:                               ;   in Loop: Header=BB7_53 Depth=2
	s_or_b64 exec, exec, s[24:25]
	s_waitcnt lgkmcnt(0)
	v_cmp_ne_u32_e32 vcc, 0, v44
	s_or_b64 s[42:43], vcc, s[42:43]
	v_add_u32_e32 v52, v52, v19
	s_andn2_b64 exec, exec, s[42:43]
	s_cbranch_execz .LBB7_221
.LBB7_53:                               ;   Parent Loop BB7_4 Depth=1
                                        ; =>  This Loop Header: Depth=2
                                        ;       Child Loop BB7_54 Depth 3
                                        ;       Child Loop BB7_63 Depth 3
	;; [unrolled: 1-line block ×12, first 2 shown]
	s_mov_b64 s[24:25], 0
	s_trap 2
.LBB7_54:                               ;   Parent Loop BB7_4 Depth=1
                                        ;     Parent Loop BB7_53 Depth=2
                                        ; =>    This Inner Loop Header: Depth=3
	ds_read_b32 v0, v0 offset:36
	s_waitcnt lgkmcnt(0)
	v_cmp_ne_u32_e32 vcc, 0, v0
	s_or_b64 s[24:25], vcc, s[24:25]
	s_andn2_b64 exec, exec, s[24:25]
	s_cbranch_execnz .LBB7_54
; %bb.55:                               ;   in Loop: Header=BB7_53 Depth=2
	s_or_b64 exec, exec, s[24:25]
	ds_read_b32 v44, v0 offset:32
	v_and_b32_e32 v0, 2, v0
	v_cmp_ne_u32_e32 vcc, 0, v0
	s_and_saveexec_b64 s[24:25], vcc
	s_xor_b64 s[24:25], exec, s[24:25]
	s_cbranch_execz .LBB7_67
; %bb.56:                               ;   in Loop: Header=BB7_53 Depth=2
	s_and_saveexec_b64 s[26:27], s[16:17]
	s_xor_b64 s[26:27], exec, s[26:27]
	s_cbranch_execz .LBB7_83
; %bb.57:                               ;   in Loop: Header=BB7_53 Depth=2
	s_and_saveexec_b64 s[28:29], s[18:19]
	s_cbranch_execz .LBB7_146
; %bb.58:                               ;   in Loop: Header=BB7_53 Depth=2
	s_mov_b64 s[46:47], exec
	v_mbcnt_lo_u32_b32 v0, s46, 0
	v_mbcnt_hi_u32_b32 v0, s47, v0
	v_cmp_eq_u32_e32 vcc, 0, v0
	s_waitcnt vmcnt(0) lgkmcnt(0)
	buffer_wbinvl1_vol
	s_and_saveexec_b64 s[44:45], vcc
	s_cbranch_execz .LBB7_60
; %bb.59:                               ;   in Loop: Header=BB7_53 Depth=2
	s_bcnt1_i32_b64 vcc_lo, s[46:47]
	v_mov_b32_e32 v0, vcc_lo
	v_mov_b32_e32 v1, v4
	ds_add_u64 v0, v[0:1]
	s_trap 2
.LBB7_60:                               ;   in Loop: Header=BB7_53 Depth=2
	s_or_b64 exec, exec, s[44:45]
	s_trap 2
	ds_read_b64 v[0:1], v0
	v_add_co_u32_e32 v14, vcc, 2, v14
	v_addc_co_u32_e32 v15, vcc, 0, v15, vcc
	s_waitcnt lgkmcnt(0)
	v_cmp_lt_u64_e32 vcc, v[0:1], v[14:15]
	s_and_saveexec_b64 s[44:45], vcc
	s_cbranch_execz .LBB7_145
; %bb.61:                               ;   in Loop: Header=BB7_53 Depth=2
	s_mov_b32 s56, 0
	s_mov_b64 s[46:47], 0
                                        ; implicit-def: $sgpr48_sgpr49
                                        ; implicit-def: $sgpr50_sgpr51
	s_branch .LBB7_63
.LBB7_62:                               ;   in Loop: Header=BB7_63 Depth=3
	s_or_b64 exec, exec, s[54:55]
	s_and_b64 vcc, exec, vcc
	s_or_b64 s[46:47], vcc, s[46:47]
	s_andn2_b64 vcc, s[48:49], exec
	s_and_b64 s[48:49], s[50:51], exec
	s_or_b64 s[48:49], vcc, s[48:49]
	s_andn2_b64 exec, exec, s[46:47]
	s_cbranch_execz .LBB7_143
.LBB7_63:                               ;   Parent Loop BB7_4 Depth=1
                                        ;     Parent Loop BB7_53 Depth=2
                                        ; =>    This Inner Loop Header: Depth=3
	s_add_i32 s56, s56, 1
	s_cmpk_lg_i32 s56, 0x2710
	s_cselect_b64 s[52:53], -1, 0
	s_and_b64 vcc, exec, s[52:53]
                                        ; implicit-def: $sgpr54_sgpr55
	s_cbranch_vccnz .LBB7_65
; %bb.64:                               ;   in Loop: Header=BB7_63 Depth=3
	s_trap 2
	ds_read_b64 v[0:1], v0
	s_andn2_b64 s[52:53], s[52:53], exec
	s_mov_b32 s56, 0
	s_mov_b64 s[54:55], -1
	s_waitcnt lgkmcnt(0)
	flat_load_dword v0, v[0:1] glc
	s_waitcnt vmcnt(0) lgkmcnt(0)
	buffer_invl2
	buffer_wbinvl1_vol
	v_cmp_eq_u32_e32 vcc, 0, v0
	s_and_b64 vcc, vcc, exec
	s_or_b64 s[52:53], s[52:53], vcc
.LBB7_65:                               ;   in Loop: Header=BB7_63 Depth=3
	s_andn2_b64 s[50:51], s[50:51], exec
	s_and_b64 s[54:55], s[54:55], exec
	s_mov_b64 vcc, -1
	s_or_b64 s[50:51], s[50:51], s[54:55]
	s_and_saveexec_b64 s[54:55], s[52:53]
	s_cbranch_execz .LBB7_62
; %bb.66:                               ;   in Loop: Header=BB7_63 Depth=3
	s_sleep 1
	s_trap 2
	ds_read_b64 v[0:1], v0
	s_andn2_b64 s[50:51], s[50:51], exec
	s_waitcnt lgkmcnt(0)
	v_cmp_ge_u64_e32 vcc, v[0:1], v[14:15]
	s_orn2_b64 vcc, vcc, exec
	s_branch .LBB7_62
.LBB7_67:                               ;   in Loop: Header=BB7_53 Depth=2
	s_andn2_saveexec_b64 s[44:45], s[24:25]
	s_cbranch_execz .LBB7_88
.LBB7_68:                               ;   in Loop: Header=BB7_53 Depth=2
	ds_read_b64 v[28:29], v0
	ds_read2_b64 v[0:3], v0 offset0:14 offset1:15
	v_and_b32_e32 v16, 36, v51
	v_cmp_ne_u32_e64 s[24:25], 0, v16
	v_pk_mov_b32 v[24:25], 0, 0
	s_waitcnt lgkmcnt(0)
	v_cmp_lt_i32_e32 vcc, -1, v28
	s_waitcnt lgkmcnt(0)
	ds_read_b32 v11, v0 offset:28
	ds_read2_b32 v[26:27], v0 offset0:5 offset1:6
	s_and_b64 s[46:47], vcc, s[24:25]
	s_and_saveexec_b64 s[24:25], s[46:47]
	s_cbranch_execz .LBB7_70
; %bb.69:                               ;   in Loop: Header=BB7_53 Depth=2
	s_trap 2
	ds_read_b64 v[22:23], v0
	v_mov_b32_e32 v25, s35
.LBB7_70:                               ;   in Loop: Header=BB7_53 Depth=2
	s_or_b64 exec, exec, s[24:25]
	v_and_b32_e32 v16, 24, v51
	v_cmp_lt_i32_e32 vcc, -1, v29
	v_cmp_ne_u32_e64 s[24:25], 0, v16
	s_and_b64 s[48:49], vcc, s[24:25]
	s_and_saveexec_b64 s[24:25], s[48:49]
	s_cbranch_execz .LBB7_72
; %bb.71:                               ;   in Loop: Header=BB7_53 Depth=2
	s_trap 2
	s_waitcnt lgkmcnt(0)
	ds_read_b64 v[22:23], v0
	v_mov_b32_e32 v25, s35
.LBB7_72:                               ;   in Loop: Header=BB7_53 Depth=2
	s_or_b64 exec, exec, s[24:25]
	s_waitcnt lgkmcnt(0)
	v_max_i32_e32 v45, 0, v11
	v_and_b32_e32 v11, 4, v51
	v_cmp_ne_u32_e32 vcc, 0, v11
	s_and_b64 s[26:27], s[46:47], vcc
	s_and_saveexec_b64 s[24:25], s[26:27]
	s_cbranch_execz .LBB7_96
; %bb.73:                               ;   in Loop: Header=BB7_53 Depth=2
	flat_load_dwordx2 v[28:29], v[24:25] offset:24
	flat_load_dword v16, v[24:25] offset:64
	ds_read2_b32 v[32:33], v0 offset0:2 offset1:4
	s_waitcnt lgkmcnt(0)
	v_add_co_u32_e32 v11, vcc, 1, v22
	v_addc_co_u32_e32 v30, vcc, 0, v23, vcc
	v_add_u32_e32 v17, v22, v33
	v_and_b32_e32 v17, 7, v17
	v_ashrrev_i32_e32 v31, 31, v32
	s_mov_b64 s[26:27], 0
                                        ; implicit-def: $sgpr52_sgpr53
                                        ; implicit-def: $sgpr50_sgpr51
	s_waitcnt vmcnt(0)
	v_mad_i64_i32 v[28:29], s[28:29], v17, v16, v[28:29]
	v_add_co_u32_e32 v28, vcc, v28, v32
	v_addc_co_u32_e32 v29, vcc, v29, v31, vcc
	v_mov_b32_e32 v31, 0
	ds_write_b64 v0, v[28:29] offset:584
                                        ; implicit-def: $sgpr28_sgpr29
	s_branch .LBB7_78
.LBB7_74:                               ;   in Loop: Header=BB7_78 Depth=3
	s_or_b64 exec, exec, s[62:63]
	v_mov_b32_e32 v28, 0
	s_orn2_b64 s[60:61], s[60:61], exec
.LBB7_75:                               ;   in Loop: Header=BB7_78 Depth=3
	s_or_b64 exec, exec, s[58:59]
	s_and_b64 s[58:59], s[60:61], exec
	v_mov_b32_e32 v31, v28
.LBB7_76:                               ;   in Loop: Header=BB7_78 Depth=3
	s_or_b64 exec, exec, s[56:57]
	s_xor_b64 vcc, s[58:59], -1
	s_andn2_b64 s[52:53], s[52:53], exec
	s_and_b64 vcc, vcc, exec
	s_andn2_b64 s[50:51], s[50:51], exec
	s_or_b64 s[52:53], s[52:53], vcc
                                        ; implicit-def: $vgpr28_vgpr29
.LBB7_77:                               ;   in Loop: Header=BB7_78 Depth=3
	s_or_b64 exec, exec, s[54:55]
	s_and_b64 vcc, exec, s[52:53]
	s_or_b64 s[26:27], vcc, s[26:27]
	s_andn2_b64 s[28:29], s[28:29], exec
	s_and_b64 vcc, s[50:51], exec
	s_or_b64 s[28:29], s[28:29], vcc
	s_andn2_b64 exec, exec, s[26:27]
	s_cbranch_execz .LBB7_89
.LBB7_78:                               ;   Parent Loop BB7_4 Depth=1
                                        ;     Parent Loop BB7_53 Depth=2
                                        ; =>    This Inner Loop Header: Depth=3
	flat_load_dwordx2 v[32:33], v[24:25] offset:48
	ds_read_b32 v28, v0 offset:16
	s_or_b64 s[50:51], s[50:51], exec
	s_or_b64 s[52:53], s[52:53], exec
	s_waitcnt lgkmcnt(0)
	v_ashrrev_i32_e32 v29, 31, v28
	v_add_co_u32_e32 v34, vcc, v11, v28
	v_addc_co_u32_e32 v35, vcc, v30, v29, vcc
	s_waitcnt vmcnt(0)
	v_cmp_lt_u64_e32 vcc, v[32:33], v[34:35]
	s_and_saveexec_b64 s[54:55], vcc
	s_cbranch_execz .LBB7_77
; %bb.79:                               ;   in Loop: Header=BB7_78 Depth=3
	flat_load_dwordx2 v[28:29], v[24:25] offset:40
	v_and_b32_e32 v16, 64, v51
	v_cmp_eq_u32_e32 vcc, 0, v16
	s_mov_b64 s[58:59], 0
	s_waitcnt vmcnt(0) lgkmcnt(0)
	flat_load_dwordx2 v[28:29], v[28:29] glc
	s_waitcnt vmcnt(0) lgkmcnt(0)
	flat_store_dwordx2 v[24:25], v[28:29] offset:48
	s_and_saveexec_b64 s[56:57], vcc
	s_cbranch_execz .LBB7_76
; %bb.80:                               ;   in Loop: Header=BB7_78 Depth=3
	v_add_u32_e32 v28, 1, v31
	v_cmp_lt_i32_e32 vcc, s34, v31
	s_mov_b64 s[60:61], -1
	s_and_saveexec_b64 s[58:59], vcc
	s_cbranch_execz .LBB7_75
; %bb.81:                               ;   in Loop: Header=BB7_78 Depth=3
	s_trap 2
	ds_read_b64 v[28:29], v0
	s_waitcnt vmcnt(0) lgkmcnt(0)
	flat_load_dword v28, v[28:29] glc
	s_waitcnt vmcnt(0) lgkmcnt(0)
	buffer_invl2
	buffer_wbinvl1_vol
	v_cmp_ne_u32_e32 vcc, 0, v28
	s_and_saveexec_b64 s[62:63], vcc
	s_cbranch_execz .LBB7_74
; %bb.82:                               ;   in Loop: Header=BB7_78 Depth=3
	v_or_b32_e32 v51, 64, v51
	s_xor_b64 s[60:61], exec, -1
	ds_write_b32 v0, v28
	s_trap 2
	s_branch .LBB7_74
.LBB7_83:                               ;   in Loop: Header=BB7_53 Depth=2
	s_andn2_saveexec_b64 s[26:27], s[26:27]
	s_cbranch_execz .LBB7_147
.LBB7_84:                               ;   in Loop: Header=BB7_53 Depth=2
	s_waitcnt vmcnt(0) lgkmcnt(0)
	buffer_wbinvl1_vol
	s_barrier
	s_or_b64 exec, exec, s[26:27]
	s_and_saveexec_b64 s[26:27], s[16:17]
	s_xor_b64 s[26:27], exec, s[26:27]
	s_cbranch_execnz .LBB7_148
.LBB7_85:                               ;   in Loop: Header=BB7_53 Depth=2
	s_andn2_saveexec_b64 s[26:27], s[26:27]
	s_cbranch_execz .LBB7_87
.LBB7_86:                               ;   in Loop: Header=BB7_53 Depth=2
	s_waitcnt vmcnt(0) lgkmcnt(0)
	buffer_wbinvl1_vol
	s_barrier
.LBB7_87:                               ;   in Loop: Header=BB7_53 Depth=2
	s_or_b64 exec, exec, s[26:27]
	s_andn2_saveexec_b64 s[44:45], s[24:25]
	s_cbranch_execnz .LBB7_68
.LBB7_88:                               ;   in Loop: Header=BB7_53 Depth=2
	s_or_b64 exec, exec, s[44:45]
	s_and_saveexec_b64 s[24:25], s[22:23]
	s_cbranch_execz .LBB7_52
	s_branch .LBB7_214
.LBB7_89:                               ;   in Loop: Header=BB7_53 Depth=2
	s_or_b64 exec, exec, s[26:27]
	s_xor_b64 s[26:27], s[28:29], -1
	s_and_saveexec_b64 s[28:29], s[26:27]
	s_xor_b64 s[26:27], exec, s[28:29]
	s_cbranch_execz .LBB7_91
; %bb.90:                               ;   in Loop: Header=BB7_53 Depth=2
	ds_read_b32 v28, v0 offset:16
	s_waitcnt lgkmcnt(0)
	v_ashrrev_i32_e32 v29, 31, v28
.LBB7_91:                               ;   in Loop: Header=BB7_53 Depth=2
	s_or_b64 exec, exec, s[26:27]
	flat_load_dwordx3 v[30:32], v[24:25] offset:56
	ds_read_b32 v11, v0 offset:8
	v_add_co_u32_e32 v16, vcc, v28, v22
	v_addc_co_u32_e32 v17, vcc, v29, v23, vcc
	s_waitcnt lgkmcnt(0)
	v_add_u32_e32 v28, v11, v45
	v_ashrrev_i32_e32 v29, 31, v28
	s_waitcnt vmcnt(0)
	v_ashrrev_i32_e32 v11, 31, v32
	v_mad_u64_u32 v[28:29], s[26:27], v16, v32, v[28:29]
	v_mul_lo_u32 v11, v16, v11
	v_mul_lo_u32 v16, v17, v32
	v_add3_u32 v29, v16, v29, v11
	v_cmp_ge_u64_e32 vcc, v[30:31], v[28:29]
	s_and_saveexec_b64 s[26:27], vcc
	s_xor_b64 s[26:27], exec, s[26:27]
	s_cbranch_execz .LBB7_93
; %bb.92:                               ;   in Loop: Header=BB7_53 Depth=2
	ds_read_b64 v[28:29], v0 offset:136
	s_waitcnt lgkmcnt(0)
	ds_write_b64 v0, v[28:29] offset:208
.LBB7_93:                               ;   in Loop: Header=BB7_53 Depth=2
	s_andn2_saveexec_b64 s[26:27], s[26:27]
	s_cbranch_execz .LBB7_95
; %bb.94:                               ;   in Loop: Header=BB7_53 Depth=2
	ds_read_b64 v[28:29], v0 offset:48
	s_waitcnt lgkmcnt(0)
	v_add_co_u32_e32 v28, vcc, v2, v28
	v_addc_co_u32_e32 v29, vcc, v3, v29, vcc
	ds_write_b64 v0, v[28:29]
.LBB7_95:                               ;   in Loop: Header=BB7_53 Depth=2
	s_or_b64 exec, exec, s[26:27]
.LBB7_96:                               ;   in Loop: Header=BB7_53 Depth=2
	s_or_b64 exec, exec, s[24:25]
	v_and_b32_e32 v11, 8, v51
	v_cmp_ne_u32_e32 vcc, 0, v11
	s_and_b64 s[26:27], s[48:49], vcc
	s_and_saveexec_b64 s[24:25], s[26:27]
	s_cbranch_execz .LBB7_108
; %bb.97:                               ;   in Loop: Header=BB7_53 Depth=2
	s_waitcnt lgkmcnt(0)
	v_add_co_u32_e32 v28, vcc, 1, v22
	v_addc_co_u32_e32 v29, vcc, 0, v23, vcc
	s_mov_b64 s[26:27], 0
	v_mov_b32_e32 v11, 0
                                        ; implicit-def: $sgpr28_sgpr29
	s_branch .LBB7_102
.LBB7_98:                               ;   in Loop: Header=BB7_102 Depth=3
	s_or_b64 exec, exec, s[58:59]
	v_mov_b32_e32 v30, 0
	s_orn2_b64 s[56:57], s[56:57], exec
.LBB7_99:                               ;   in Loop: Header=BB7_102 Depth=3
	s_or_b64 exec, exec, s[54:55]
	s_and_b64 s[54:55], s[56:57], exec
	v_mov_b32_e32 v11, v30
.LBB7_100:                              ;   in Loop: Header=BB7_102 Depth=3
	s_or_b64 exec, exec, s[52:53]
	s_xor_b64 vcc, s[54:55], -1
	s_andn2_b64 s[28:29], s[28:29], exec
	s_and_b64 vcc, vcc, exec
	s_or_b64 s[28:29], s[28:29], vcc
.LBB7_101:                              ;   in Loop: Header=BB7_102 Depth=3
	s_or_b64 exec, exec, s[50:51]
	s_and_b64 vcc, exec, s[28:29]
	s_or_b64 s[26:27], vcc, s[26:27]
	s_andn2_b64 exec, exec, s[26:27]
	s_cbranch_execz .LBB7_107
.LBB7_102:                              ;   Parent Loop BB7_4 Depth=1
                                        ;     Parent Loop BB7_53 Depth=2
                                        ; =>    This Inner Loop Header: Depth=3
	flat_load_dwordx2 v[30:31], v[24:25] offset:48
	s_or_b64 s[28:29], s[28:29], exec
	s_waitcnt vmcnt(0) lgkmcnt(0)
	v_add_co_u32_e32 v30, vcc, 8, v30
	v_addc_co_u32_e32 v31, vcc, 0, v31, vcc
	v_cmp_lt_u64_e32 vcc, v[30:31], v[28:29]
	s_and_saveexec_b64 s[50:51], vcc
	s_cbranch_execz .LBB7_101
; %bb.103:                              ;   in Loop: Header=BB7_102 Depth=3
	flat_load_dwordx2 v[30:31], v[24:25] offset:32
	v_and_b32_e32 v16, 64, v51
	v_cmp_eq_u32_e32 vcc, 0, v16
	s_mov_b64 s[54:55], 0
	s_waitcnt vmcnt(0) lgkmcnt(0)
	flat_load_dwordx2 v[30:31], v[30:31] glc
	s_waitcnt vmcnt(0) lgkmcnt(0)
	flat_store_dwordx2 v[24:25], v[30:31] offset:48
	s_and_saveexec_b64 s[52:53], vcc
	s_cbranch_execz .LBB7_100
; %bb.104:                              ;   in Loop: Header=BB7_102 Depth=3
	v_add_u32_e32 v30, 1, v11
	v_cmp_lt_i32_e32 vcc, s34, v11
	s_mov_b64 s[56:57], -1
	s_and_saveexec_b64 s[54:55], vcc
	s_cbranch_execz .LBB7_99
; %bb.105:                              ;   in Loop: Header=BB7_102 Depth=3
	s_trap 2
	ds_read_b64 v[30:31], v0
	s_waitcnt vmcnt(0) lgkmcnt(0)
	flat_load_dword v11, v[30:31] glc
	s_waitcnt vmcnt(0) lgkmcnt(0)
	buffer_invl2
	buffer_wbinvl1_vol
	v_cmp_ne_u32_e32 vcc, 0, v11
	s_and_saveexec_b64 s[58:59], vcc
	s_cbranch_execz .LBB7_98
; %bb.106:                              ;   in Loop: Header=BB7_102 Depth=3
	v_or_b32_e32 v51, 64, v51
	s_xor_b64 s[56:57], exec, -1
	ds_write_b32 v0, v11
	s_trap 2
	s_branch .LBB7_98
.LBB7_107:                              ;   in Loop: Header=BB7_53 Depth=2
	s_or_b64 exec, exec, s[26:27]
	flat_load_dwordx2 v[28:29], v[24:25] offset:24
	flat_load_dword v11, v[24:25] offset:64
	ds_read_b32 v16, v0 offset:12
	v_and_b32_e32 v17, 7, v22
	s_waitcnt lgkmcnt(0)
	v_ashrrev_i32_e32 v30, 31, v16
	s_waitcnt vmcnt(0)
	v_mad_i64_i32 v[28:29], s[26:27], v17, v11, v[28:29]
	v_add_co_u32_e32 v28, vcc, v28, v16
	v_addc_co_u32_e32 v29, vcc, v29, v30, vcc
	ds_write_b64 v0, v[28:29] offset:584
.LBB7_108:                              ;   in Loop: Header=BB7_53 Depth=2
	s_or_b64 exec, exec, s[24:25]
	s_trap 2
	ds_read_b32 v11, v0
	ds_read_b64 v[28:29], v0
	v_and_b32_e32 v16, 1, v51
	v_cmp_eq_u32_e64 s[24:25], 1, v16
	s_waitcnt lgkmcnt(0)
	v_cmp_gt_i32_e32 vcc, 0, v11
	s_and_b64 s[28:29], vcc, s[24:25]
	s_and_saveexec_b64 s[26:27], s[28:29]
	s_cbranch_execz .LBB7_120
; %bb.109:                              ;   in Loop: Header=BB7_53 Depth=2
	ds_read_b64 v[30:31], v0 offset:40
	s_waitcnt lgkmcnt(0)
	v_add_co_u32_e32 v0, vcc, v0, v30
	v_addc_co_u32_e32 v1, vcc, v1, v31, vcc
	v_add_co_u32_e32 v30, vcc, v30, v45
	v_addc_co_u32_e32 v31, vcc, 0, v31, vcc
	v_cmp_lt_u64_e32 vcc, v[28:29], v[30:31]
	ds_write_b64 v0, v[0:1] offset:584
	s_and_saveexec_b64 s[28:29], vcc
	s_cbranch_execz .LBB7_111
; %bb.110:                              ;   in Loop: Header=BB7_53 Depth=2
	ds_read_b64 v[0:1], v0 offset:48
	v_pk_mov_b32 v[28:29], v[30:31], v[30:31] op_sel:[0,1]
	s_waitcnt lgkmcnt(0)
	v_add_co_u32_e32 v0, vcc, v2, v0
	v_addc_co_u32_e32 v1, vcc, v3, v1, vcc
.LBB7_111:                              ;   in Loop: Header=BB7_53 Depth=2
	s_or_b64 exec, exec, s[28:29]
	ds_write_b64 v0, v[0:1]
	s_or_b64 exec, exec, s[26:27]
	s_and_saveexec_b64 s[26:27], s[16:17]
	s_xor_b64 s[26:27], exec, s[26:27]
	s_cbranch_execnz .LBB7_121
.LBB7_112:                              ;   in Loop: Header=BB7_53 Depth=2
	s_andn2_saveexec_b64 s[26:27], s[26:27]
	s_cbranch_execz .LBB7_114
.LBB7_113:                              ;   in Loop: Header=BB7_53 Depth=2
	s_waitcnt vmcnt(0) lgkmcnt(0)
	buffer_wbinvl1_vol
	s_barrier
.LBB7_114:                              ;   in Loop: Header=BB7_53 Depth=2
	s_or_b64 exec, exec, s[26:27]
	ds_read_b32 v30, v0 offset:4
	ds_read2_b64 v[0:3], v0 offset0:17 offset1:26
	s_trap 2
	s_mov_b64 s[26:27], -1
	s_waitcnt lgkmcnt(0)
	ds_read_b32 v11, v0
	s_and_saveexec_b64 s[28:29], s[20:21]
	s_cbranch_execz .LBB7_116
; %bb.115:                              ;   in Loop: Header=BB7_53 Depth=2
	ds_read_b32 v16, v0 offset:584
	s_waitcnt lgkmcnt(0)
	v_and_b32_e32 v16, 15, v16
	v_cmp_eq_u32_e32 vcc, 0, v16
	s_orn2_b64 s[26:27], vcc, exec
.LBB7_116:                              ;   in Loop: Header=BB7_53 Depth=2
	s_or_b64 exec, exec, s[28:29]
	v_cmp_gt_i32_e32 vcc, 0, v30
	v_cndmask_b32_e64 v16, 2, 1, vcc
	v_lshrrev_b32_e32 v17, 28, v30
	v_cmp_eq_u64_e32 vcc, v[0:1], v[2:3]
	v_and_b32_e32 v17, 8, v17
	v_subbrev_co_u32_e32 v47, vcc, 0, v16, vcc
	v_add_u32_e32 v46, v0, v17
	v_cmp_lt_i32_e32 vcc, v13, v47
	s_and_saveexec_b64 s[28:29], vcc
	s_cbranch_execz .LBB7_118
; %bb.117:                              ;   in Loop: Header=BB7_53 Depth=2
	v_lshl_add_u32 v0, v13, 3, v46
	ds_read_b32 v0, v0 offset:584
	s_waitcnt lgkmcnt(0)
	v_and_b32_e32 v0, 15, v0
	v_cmp_eq_u32_e32 vcc, 0, v0
	s_and_b64 vcc, s[26:27], vcc
	s_andn2_b64 s[26:27], s[26:27], exec
	s_and_b64 vcc, vcc, exec
	s_or_b64 s[26:27], s[26:27], vcc
.LBB7_118:                              ;   in Loop: Header=BB7_53 Depth=2
	s_or_b64 exec, exec, s[28:29]
	s_xor_b64 s[26:27], s[26:27], -1
	s_waitcnt lgkmcnt(0)
	v_cmp_eq_u32_e32 vcc, 0, v11
	v_cndmask_b32_e64 v0, 0, 1, s[26:27]
	v_mov_b32_e32 v31, 0
	v_cndmask_b32_e32 v56, 0, v45, vcc
	s_mov_b64 s[50:51], -1
	;;#ASMSTART
	;;#ASMEND
	v_cmp_ne_u32_e32 vcc, 0, v0
	s_cbranch_vccz .LBB7_131
; %bb.119:                              ;   in Loop: Header=BB7_53 Depth=2
	v_mov_b32_e32 v34, v12
	s_and_saveexec_b64 s[28:29], s[50:51]
	s_cbranch_execnz .LBB7_169
	s_branch .LBB7_181
.LBB7_120:                              ;   in Loop: Header=BB7_53 Depth=2
	s_or_b64 exec, exec, s[26:27]
	s_and_saveexec_b64 s[26:27], s[16:17]
	s_xor_b64 s[26:27], exec, s[26:27]
	s_cbranch_execz .LBB7_112
.LBB7_121:                              ;   in Loop: Header=BB7_53 Depth=2
	s_and_saveexec_b64 s[28:29], s[18:19]
	s_cbranch_execz .LBB7_161
; %bb.122:                              ;   in Loop: Header=BB7_53 Depth=2
	s_mov_b64 s[52:53], exec
	v_mbcnt_lo_u32_b32 v0, s52, 0
	v_mbcnt_hi_u32_b32 v0, s53, v0
	v_cmp_eq_u32_e32 vcc, 0, v0
	s_waitcnt vmcnt(0) lgkmcnt(0)
	buffer_wbinvl1_vol
	s_and_saveexec_b64 s[50:51], vcc
	s_cbranch_execz .LBB7_124
; %bb.123:                              ;   in Loop: Header=BB7_53 Depth=2
	s_bcnt1_i32_b64 vcc_lo, s[52:53]
	v_mov_b32_e32 v0, vcc_lo
	v_mov_b32_e32 v1, v4
	ds_add_u64 v0, v[0:1]
	s_trap 2
.LBB7_124:                              ;   in Loop: Header=BB7_53 Depth=2
	s_or_b64 exec, exec, s[50:51]
	s_trap 2
	ds_read_b64 v[0:1], v0
	v_add_co_u32_e32 v14, vcc, 2, v14
	v_addc_co_u32_e32 v15, vcc, 0, v15, vcc
	s_waitcnt lgkmcnt(0)
	v_cmp_lt_u64_e32 vcc, v[0:1], v[14:15]
	s_and_saveexec_b64 s[50:51], vcc
	s_cbranch_execz .LBB7_160
; %bb.125:                              ;   in Loop: Header=BB7_53 Depth=2
	s_mov_b32 s62, 0
	s_mov_b64 s[52:53], 0
                                        ; implicit-def: $sgpr54_sgpr55
                                        ; implicit-def: $sgpr56_sgpr57
	s_branch .LBB7_127
.LBB7_126:                              ;   in Loop: Header=BB7_127 Depth=3
	s_or_b64 exec, exec, s[60:61]
	s_and_b64 vcc, exec, vcc
	s_or_b64 s[52:53], vcc, s[52:53]
	s_andn2_b64 vcc, s[54:55], exec
	s_and_b64 s[54:55], s[56:57], exec
	s_or_b64 s[54:55], vcc, s[54:55]
	s_andn2_b64 exec, exec, s[52:53]
	s_cbranch_execz .LBB7_158
.LBB7_127:                              ;   Parent Loop BB7_4 Depth=1
                                        ;     Parent Loop BB7_53 Depth=2
                                        ; =>    This Inner Loop Header: Depth=3
	s_add_i32 s62, s62, 1
	s_cmpk_lg_i32 s62, 0x2710
	s_cselect_b64 s[58:59], -1, 0
	s_and_b64 vcc, exec, s[58:59]
                                        ; implicit-def: $sgpr60_sgpr61
	s_cbranch_vccnz .LBB7_129
; %bb.128:                              ;   in Loop: Header=BB7_127 Depth=3
	s_trap 2
	ds_read_b64 v[0:1], v0
	s_andn2_b64 s[58:59], s[58:59], exec
	s_mov_b32 s62, 0
	s_mov_b64 s[60:61], -1
	s_waitcnt lgkmcnt(0)
	flat_load_dword v0, v[0:1] glc
	s_waitcnt vmcnt(0) lgkmcnt(0)
	buffer_invl2
	buffer_wbinvl1_vol
	v_cmp_eq_u32_e32 vcc, 0, v0
	s_and_b64 vcc, vcc, exec
	s_or_b64 s[58:59], s[58:59], vcc
.LBB7_129:                              ;   in Loop: Header=BB7_127 Depth=3
	s_andn2_b64 s[56:57], s[56:57], exec
	s_and_b64 s[60:61], s[60:61], exec
	s_mov_b64 vcc, -1
	s_or_b64 s[56:57], s[56:57], s[60:61]
	s_and_saveexec_b64 s[60:61], s[58:59]
	s_cbranch_execz .LBB7_126
; %bb.130:                              ;   in Loop: Header=BB7_127 Depth=3
	s_sleep 1
	s_trap 2
	ds_read_b64 v[0:1], v0
	s_andn2_b64 s[56:57], s[56:57], exec
	s_waitcnt lgkmcnt(0)
	v_cmp_ge_u64_e32 vcc, v[0:1], v[14:15]
	s_orn2_b64 vcc, vcc, exec
	s_branch .LBB7_126
.LBB7_131:                              ;   in Loop: Header=BB7_53 Depth=2
	v_accvgpr_read_b32 v0, a2
	v_and_b32_e32 v57, 0x3ff, v56
	v_sub_u32_e32 v11, v56, v0
	v_lshrrev_b32_e32 v0, 10, v56
	v_cmp_lt_u32_e32 vcc, 15, v57
	v_addc_co_u32_e64 v58, s[26:27], v0, v53, vcc
	v_cmp_lt_i32_e64 s[26:27], 15, v11
	v_accvgpr_read_b32 v1, a3
	s_and_saveexec_b64 s[50:51], s[26:27]
	s_cbranch_execz .LBB7_137
; %bb.132:                              ;   in Loop: Header=BB7_53 Depth=2
	ds_read_b64 v[30:31], v46 offset:584
	ds_read_b64 v[32:33], v0 offset:584
	v_accvgpr_read_b32 v37, a3
	v_accvgpr_read_b32 v35, a3
	v_cmp_lt_u32_e64 s[26:27], 1, v47
	s_mov_b64 s[52:53], 0
	v_accvgpr_read_b32 v36, a2
	v_accvgpr_read_b32 v34, a2
	s_branch .LBB7_134
.LBB7_133:                              ;   in Loop: Header=BB7_134 Depth=3
	s_or_b64 exec, exec, s[54:55]
	v_add_co_u32_e64 v36, s[28:29], v36, v18
	v_sub_u32_e32 v11, v11, v18
	v_addc_co_u32_e64 v37, s[28:29], v37, v5, s[28:29]
	v_cmp_gt_i32_e64 s[28:29], 16, v11
	s_or_b64 s[52:53], s[28:29], s[52:53]
	v_add_co_u32_e64 v34, s[28:29], v34, v54
	v_sub_u32_e32 v58, v58, v8
	v_addc_co_u32_e64 v35, s[28:29], v35, v55, s[28:29]
	s_andn2_b64 exec, exec, s[52:53]
	s_cbranch_execz .LBB7_136
.LBB7_134:                              ;   Parent Loop BB7_4 Depth=1
                                        ;     Parent Loop BB7_53 Depth=2
                                        ; =>    This Inner Loop Header: Depth=3
	s_waitcnt lgkmcnt(0)
	v_add_co_u32_e64 v0, s[28:29], v32, v34
	v_addc_co_u32_e64 v1, s[28:29], v33, v35, s[28:29]
	global_load_dwordx4 v[0:3], v[0:1], off glc slc
	v_add_co_u32_e64 v60, s[28:29], v30, v34
	v_addc_co_u32_e64 v61, s[28:29], v31, v35, s[28:29]
	s_waitcnt vmcnt(0)
	global_store_dwordx4 v[60:61], v[0:3], off glc slc
	s_and_saveexec_b64 s[54:55], s[26:27]
	s_cbranch_execz .LBB7_133
; %bb.135:                              ;   in Loop: Header=BB7_134 Depth=3
	ds_read_b64 v[60:61], v46 offset:592
	s_waitcnt lgkmcnt(0)
	v_add_co_u32_e64 v60, s[28:29], v36, v60
	v_addc_co_u32_e64 v61, s[28:29], v37, v61, s[28:29]
	global_store_dwordx4 v[60:61], v[0:3], off glc slc
	s_branch .LBB7_133
.LBB7_136:                              ;   in Loop: Header=BB7_53 Depth=2
	s_or_b64 exec, exec, s[52:53]
.LBB7_137:                              ;   in Loop: Header=BB7_53 Depth=2
	s_or_b64 exec, exec, s[50:51]
	v_and_b32_e32 v0, 15, v56
	v_cndmask_b32_e32 v11, v57, v0, vcc
	v_cmp_ne_u32_e64 s[26:27], 0, v11
	s_mov_b64 s[50:51], 0
	v_mov_b32_e32 v31, 0
                                        ; implicit-def: $vgpr34
	s_and_saveexec_b64 s[28:29], s[26:27]
	s_cbranch_execz .LBB7_168
; %bb.138:                              ;   in Loop: Header=BB7_53 Depth=2
	v_sub_u32_e32 v0, v57, v0
	v_cndmask_b32_e32 v57, 0, v0, vcc
	v_cmp_lt_i32_e32 vcc, 0, v58
	v_cndmask_b32_e32 v0, 0, v8, vcc
	v_sub_u32_e32 v0, v0, v58
	v_lshl_add_u32 v0, v0, 6, v13
	v_ashrrev_i32_e32 v1, 31, v0
	v_lshrrev_b32_e32 v1, 26, v1
	v_add_u32_e32 v1, v0, v1
	v_ashrrev_i32_e32 v2, 6, v1
	v_and_b32_e32 v1, 0xffffffc0, v1
	v_sub_u32_e32 v59, v0, v1
	v_lshlrev_b32_e32 v0, 4, v59
	v_lshl_add_u32 v0, v2, 10, v0
	v_sub_u32_e32 v60, v11, v0
	v_and_b32_e32 v56, 0x7ffffc00, v56
	v_sub_u32_e32 v58, 0, v2
	v_cmp_lt_i32_e32 vcc, 15, v60
	s_and_saveexec_b64 s[50:51], vcc
	s_cbranch_execz .LBB7_167
; %bb.139:                              ;   in Loop: Header=BB7_53 Depth=2
	ds_read_b64 v[30:31], v46 offset:584
	ds_read_b64 v[32:33], v0 offset:584
	v_add3_u32 v34, v57, v56, v0
	v_ashrrev_i32_e32 v35, 31, v34
	v_cmp_lt_i32_e32 vcc, 1, v47
	s_mov_b64 s[52:53], 0
	v_pk_mov_b32 v[36:37], v[34:35], v[34:35] op_sel:[0,1]
	s_branch .LBB7_141
.LBB7_140:                              ;   in Loop: Header=BB7_141 Depth=3
	s_or_b64 exec, exec, s[54:55]
	v_add_co_u32_e64 v36, s[26:27], v36, v18
	v_sub_u32_e32 v60, v60, v18
	v_addc_co_u32_e64 v37, s[26:27], v37, v5, s[26:27]
	v_cmp_gt_i32_e64 s[26:27], 16, v60
	s_or_b64 s[52:53], s[26:27], s[52:53]
	v_add_co_u32_e64 v34, s[26:27], v34, v54
	v_sub_u32_e32 v58, v58, v8
	v_addc_co_u32_e64 v35, s[26:27], v35, v55, s[26:27]
	s_andn2_b64 exec, exec, s[52:53]
	s_cbranch_execz .LBB7_166
.LBB7_141:                              ;   Parent Loop BB7_4 Depth=1
                                        ;     Parent Loop BB7_53 Depth=2
                                        ; =>    This Inner Loop Header: Depth=3
	s_waitcnt lgkmcnt(0)
	v_add_co_u32_e64 v0, s[26:27], v32, v34
	v_addc_co_u32_e64 v1, s[26:27], v33, v35, s[26:27]
	global_load_dwordx4 v[0:3], v[0:1], off glc slc
	v_add_co_u32_e64 v38, s[26:27], v30, v34
	v_addc_co_u32_e64 v39, s[26:27], v31, v35, s[26:27]
	s_waitcnt vmcnt(0)
	global_store_dwordx4 v[38:39], v[0:3], off glc slc
	s_and_saveexec_b64 s[54:55], vcc
	s_cbranch_execz .LBB7_140
; %bb.142:                              ;   in Loop: Header=BB7_141 Depth=3
	ds_read_b64 v[38:39], v46 offset:592
	s_waitcnt lgkmcnt(0)
	v_add_co_u32_e64 v38, s[26:27], v36, v38
	v_addc_co_u32_e64 v39, s[26:27], v37, v39, s[26:27]
	global_store_dwordx4 v[38:39], v[0:3], off glc slc
	s_branch .LBB7_140
.LBB7_143:                              ;   in Loop: Header=BB7_53 Depth=2
	s_or_b64 exec, exec, s[46:47]
	s_and_saveexec_b64 vcc, s[48:49]
	s_xor_b64 vcc, exec, vcc
	s_cbranch_execz .LBB7_145
; %bb.144:                              ;   in Loop: Header=BB7_53 Depth=2
	ds_write_b32 v0, v48
	s_trap 2
.LBB7_145:                              ;   in Loop: Header=BB7_53 Depth=2
	s_or_b64 exec, exec, s[44:45]
	;;#ASMSTART
	s_wakeup
	;;#ASMEND
.LBB7_146:                              ;   in Loop: Header=BB7_53 Depth=2
	s_or_b64 exec, exec, s[28:29]
	s_andn2_saveexec_b64 s[26:27], s[26:27]
	s_cbranch_execnz .LBB7_84
.LBB7_147:                              ;   in Loop: Header=BB7_53 Depth=2
	s_or_b64 exec, exec, s[26:27]
	s_and_saveexec_b64 s[26:27], s[16:17]
	s_xor_b64 s[26:27], exec, s[26:27]
	s_cbranch_execz .LBB7_85
.LBB7_148:                              ;   in Loop: Header=BB7_53 Depth=2
	s_and_saveexec_b64 s[28:29], s[18:19]
	s_cbranch_execz .LBB7_165
; %bb.149:                              ;   in Loop: Header=BB7_53 Depth=2
	s_mov_b64 s[46:47], exec
	v_mbcnt_lo_u32_b32 v0, s46, 0
	v_mbcnt_hi_u32_b32 v0, s47, v0
	v_cmp_eq_u32_e32 vcc, 0, v0
	s_waitcnt vmcnt(0) lgkmcnt(0)
	buffer_wbinvl1_vol
	s_and_saveexec_b64 s[44:45], vcc
	s_cbranch_execz .LBB7_151
; %bb.150:                              ;   in Loop: Header=BB7_53 Depth=2
	s_bcnt1_i32_b64 vcc_lo, s[46:47]
	v_mov_b32_e32 v0, vcc_lo
	v_mov_b32_e32 v1, v4
	ds_add_u64 v0, v[0:1]
	s_trap 2
.LBB7_151:                              ;   in Loop: Header=BB7_53 Depth=2
	s_or_b64 exec, exec, s[44:45]
	s_trap 2
	ds_read_b64 v[0:1], v0
	v_add_co_u32_e32 v14, vcc, 2, v14
	v_addc_co_u32_e32 v15, vcc, 0, v15, vcc
	s_waitcnt lgkmcnt(0)
	v_cmp_lt_u64_e32 vcc, v[0:1], v[14:15]
	s_and_saveexec_b64 s[44:45], vcc
	s_cbranch_execz .LBB7_164
; %bb.152:                              ;   in Loop: Header=BB7_53 Depth=2
	s_mov_b32 s56, 0
	s_mov_b64 s[46:47], 0
                                        ; implicit-def: $sgpr48_sgpr49
                                        ; implicit-def: $sgpr50_sgpr51
	s_branch .LBB7_154
.LBB7_153:                              ;   in Loop: Header=BB7_154 Depth=3
	s_or_b64 exec, exec, s[54:55]
	s_and_b64 vcc, exec, vcc
	s_or_b64 s[46:47], vcc, s[46:47]
	s_andn2_b64 vcc, s[48:49], exec
	s_and_b64 s[48:49], s[50:51], exec
	s_or_b64 s[48:49], vcc, s[48:49]
	s_andn2_b64 exec, exec, s[46:47]
	s_cbranch_execz .LBB7_162
.LBB7_154:                              ;   Parent Loop BB7_4 Depth=1
                                        ;     Parent Loop BB7_53 Depth=2
                                        ; =>    This Inner Loop Header: Depth=3
	s_add_i32 s56, s56, 1
	s_cmpk_lg_i32 s56, 0x2710
	s_cselect_b64 s[52:53], -1, 0
	s_and_b64 vcc, exec, s[52:53]
                                        ; implicit-def: $sgpr54_sgpr55
	s_cbranch_vccnz .LBB7_156
; %bb.155:                              ;   in Loop: Header=BB7_154 Depth=3
	s_trap 2
	ds_read_b64 v[0:1], v0
	s_andn2_b64 s[52:53], s[52:53], exec
	s_mov_b32 s56, 0
	s_mov_b64 s[54:55], -1
	s_waitcnt lgkmcnt(0)
	flat_load_dword v0, v[0:1] glc
	s_waitcnt vmcnt(0) lgkmcnt(0)
	buffer_invl2
	buffer_wbinvl1_vol
	v_cmp_eq_u32_e32 vcc, 0, v0
	s_and_b64 vcc, vcc, exec
	s_or_b64 s[52:53], s[52:53], vcc
.LBB7_156:                              ;   in Loop: Header=BB7_154 Depth=3
	s_andn2_b64 s[50:51], s[50:51], exec
	s_and_b64 s[54:55], s[54:55], exec
	s_mov_b64 vcc, -1
	s_or_b64 s[50:51], s[50:51], s[54:55]
	s_and_saveexec_b64 s[54:55], s[52:53]
	s_cbranch_execz .LBB7_153
; %bb.157:                              ;   in Loop: Header=BB7_154 Depth=3
	s_sleep 1
	s_trap 2
	ds_read_b64 v[0:1], v0
	s_andn2_b64 s[50:51], s[50:51], exec
	s_waitcnt lgkmcnt(0)
	v_cmp_ge_u64_e32 vcc, v[0:1], v[14:15]
	s_orn2_b64 vcc, vcc, exec
	s_branch .LBB7_153
.LBB7_158:                              ;   in Loop: Header=BB7_53 Depth=2
	s_or_b64 exec, exec, s[52:53]
	s_and_saveexec_b64 vcc, s[54:55]
	s_xor_b64 vcc, exec, vcc
	s_cbranch_execz .LBB7_160
; %bb.159:                              ;   in Loop: Header=BB7_53 Depth=2
	ds_write_b32 v0, v48
	s_trap 2
.LBB7_160:                              ;   in Loop: Header=BB7_53 Depth=2
	s_or_b64 exec, exec, s[50:51]
	;;#ASMSTART
	s_wakeup
	;;#ASMEND
.LBB7_161:                              ;   in Loop: Header=BB7_53 Depth=2
	s_or_b64 exec, exec, s[28:29]
	s_andn2_saveexec_b64 s[26:27], s[26:27]
	s_cbranch_execnz .LBB7_113
	s_branch .LBB7_114
.LBB7_162:                              ;   in Loop: Header=BB7_53 Depth=2
	s_or_b64 exec, exec, s[46:47]
	s_and_saveexec_b64 vcc, s[48:49]
	s_xor_b64 vcc, exec, vcc
	s_cbranch_execz .LBB7_164
; %bb.163:                              ;   in Loop: Header=BB7_53 Depth=2
	ds_write_b32 v0, v48
	s_trap 2
.LBB7_164:                              ;   in Loop: Header=BB7_53 Depth=2
	s_or_b64 exec, exec, s[44:45]
	;;#ASMSTART
	s_wakeup
	;;#ASMEND
.LBB7_165:                              ;   in Loop: Header=BB7_53 Depth=2
	s_or_b64 exec, exec, s[28:29]
	s_andn2_saveexec_b64 s[26:27], s[26:27]
	s_cbranch_execnz .LBB7_86
	s_branch .LBB7_87
.LBB7_166:                              ;   in Loop: Header=BB7_53 Depth=2
	s_or_b64 exec, exec, s[52:53]
.LBB7_167:                              ;   in Loop: Header=BB7_53 Depth=2
	s_or_b64 exec, exec, s[50:51]
	v_cmp_lt_i32_e32 vcc, 0, v58
	v_cndmask_b32_e32 v0, 0, v8, vcc
	v_sub_u32_e32 v0, v0, v58
	s_mov_b64 s[50:51], exec
	v_or_b32_e32 v31, v57, v56
	v_lshl_add_u32 v34, v0, 6, v59
.LBB7_168:                              ;   in Loop: Header=BB7_53 Depth=2
	s_or_b64 exec, exec, s[28:29]
	v_mov_b32_e32 v56, v11
	s_and_saveexec_b64 s[28:29], s[50:51]
	s_cbranch_execz .LBB7_181
.LBB7_169:                              ;   in Loop: Header=BB7_53 Depth=2
	v_ashrrev_i32_e32 v0, 31, v34
	v_lshrrev_b32_e32 v0, 26, v0
	v_add_u32_e32 v11, v34, v0
	v_ashrrev_i32_e32 v35, 6, v11
	v_lshrrev_b32_e32 v0, 9, v56
	v_sub_u32_e32 v36, v0, v35
	v_cmp_lt_i32_e32 vcc, 0, v36
	s_and_saveexec_b64 s[50:51], vcc
	s_cbranch_execz .LBB7_175
; %bb.170:                              ;   in Loop: Header=BB7_53 Depth=2
	ds_read_b64 v[0:1], v0 offset:584
	ds_read_b64 v[2:3], v46 offset:584
	v_and_b32_e32 v11, 0xffffffc0, v11
	v_sub_u32_e32 v11, v34, v11
	v_lshlrev_b32_e32 v16, 9, v35
	v_add3_u32 v30, v31, v11, v16
	v_ashrrev_i32_e32 v11, 31, v30
	v_cmp_lt_i32_e32 vcc, 1, v47
	s_mov_b64 s[52:53], 0
	v_pk_mov_b32 v[32:33], 0, 0
	s_branch .LBB7_172
.LBB7_171:                              ;   in Loop: Header=BB7_172 Depth=3
	s_or_b64 exec, exec, s[54:55]
	v_add_co_u32_e64 v32, s[26:27], v32, v20
	v_addc_co_u32_e64 v33, s[26:27], v33, v7, s[26:27]
	v_add_co_u32_e64 v0, s[26:27], v0, v40
	v_sub_u32_e32 v36, v36, v8
	v_addc_co_u32_e64 v1, s[26:27], v1, v41, s[26:27]
	v_cmp_gt_i32_e64 s[26:27], 1, v36
	s_or_b64 s[52:53], s[26:27], s[52:53]
	v_add_co_u32_e64 v2, s[26:27], v2, v40
	v_addc_co_u32_e64 v3, s[26:27], v3, v41, s[26:27]
	s_andn2_b64 exec, exec, s[52:53]
	s_cbranch_execz .LBB7_174
.LBB7_172:                              ;   Parent Loop BB7_4 Depth=1
                                        ;     Parent Loop BB7_53 Depth=2
                                        ; =>    This Inner Loop Header: Depth=3
	s_waitcnt lgkmcnt(0)
	v_add_co_u32_e64 v38, s[26:27], v30, v0
	v_addc_co_u32_e64 v39, s[26:27], v11, v1, s[26:27]
	flat_load_ubyte v37, v[38:39] glc slc
	flat_load_ubyte v57, v[38:39] offset:64 glc slc
	flat_load_ubyte v58, v[38:39] offset:128 glc slc
	flat_load_ubyte v59, v[38:39] offset:192 glc slc
	flat_load_ubyte v60, v[38:39] offset:256 glc slc
	flat_load_ubyte v61, v[38:39] offset:320 glc slc
	flat_load_ubyte v62, v[38:39] offset:384 glc slc
	s_nop 0
	flat_load_ubyte v38, v[38:39] offset:448 glc slc
	s_waitcnt lgkmcnt(0)
	v_add_co_u32_e64 v16, s[26:27], v30, v2
	v_addc_co_u32_e64 v17, s[26:27], v11, v3, s[26:27]
	s_waitcnt vmcnt(0)
	flat_store_byte v[16:17], v37 glc slc
	flat_store_byte v[16:17], v57 offset:64 glc slc
	flat_store_byte v[16:17], v58 offset:128 glc slc
	;; [unrolled: 1-line block ×7, first 2 shown]
	s_and_saveexec_b64 s[54:55], vcc
	s_cbranch_execz .LBB7_171
; %bb.173:                              ;   in Loop: Header=BB7_172 Depth=3
	ds_read_b64 v[16:17], v46 offset:592
	v_add_co_u32_e64 v39, s[26:27], v30, v32
	v_addc_co_u32_e64 v49, s[26:27], v11, v33, s[26:27]
	s_waitcnt lgkmcnt(0)
	v_add_co_u32_e64 v16, s[26:27], v39, v16
	v_addc_co_u32_e64 v17, s[26:27], v49, v17, s[26:27]
	flat_store_byte v[16:17], v37 glc slc
	flat_store_byte v[16:17], v57 offset:64 glc slc
	flat_store_byte v[16:17], v58 offset:128 glc slc
	;; [unrolled: 1-line block ×7, first 2 shown]
	s_branch .LBB7_171
.LBB7_174:                              ;   in Loop: Header=BB7_53 Depth=2
	s_or_b64 exec, exec, s[52:53]
	v_mov_b32_e32 v49, 2
.LBB7_175:                              ;   in Loop: Header=BB7_53 Depth=2
	s_or_b64 exec, exec, s[50:51]
	v_and_b32_e32 v0, 0xfffffe00, v56
	v_cmp_ne_u32_e32 vcc, v56, v0
	s_and_b64 exec, exec, vcc
	s_cbranch_execz .LBB7_181
; %bb.176:                              ;   in Loop: Header=BB7_53 Depth=2
	v_lshlrev_b32_e32 v1, 6, v35
	v_sub_u32_e32 v1, v34, v1
	v_lshlrev_b32_e32 v2, 6, v36
	v_sub_u32_e32 v1, v1, v2
	v_and_b32_e32 v2, 0x1ff, v56
	v_sub_u32_e32 v11, v2, v1
	v_cmp_lt_i32_e32 vcc, 0, v11
	s_and_b64 exec, exec, vcc
	s_cbranch_execz .LBB7_181
; %bb.177:                              ;   in Loop: Header=BB7_53 Depth=2
	v_add3_u32 v0, v0, v31, v1
	ds_read_b64 v[2:3], v46 offset:584
	ds_read_b64 v[30:31], v0 offset:584
	v_ashrrev_i32_e32 v1, 31, v0
	v_cmp_lt_i32_e32 vcc, 1, v47
	s_mov_b64 s[50:51], 0
	v_pk_mov_b32 v[32:33], v[0:1], v[0:1] op_sel:[0,1]
	s_branch .LBB7_179
.LBB7_178:                              ;   in Loop: Header=BB7_179 Depth=3
	s_or_b64 exec, exec, s[52:53]
	v_add_co_u32_e64 v32, s[26:27], v32, v10
	v_sub_u32_e32 v11, v11, v10
	v_addc_co_u32_e64 v33, s[26:27], v33, v9, s[26:27]
	v_cmp_gt_i32_e64 s[26:27], 1, v11
	s_or_b64 s[50:51], s[26:27], s[50:51]
	v_add_co_u32_e64 v0, s[26:27], v0, v42
	v_addc_co_u32_e64 v1, s[26:27], v1, v43, s[26:27]
	s_andn2_b64 exec, exec, s[50:51]
	s_cbranch_execz .LBB7_181
.LBB7_179:                              ;   Parent Loop BB7_4 Depth=1
                                        ;     Parent Loop BB7_53 Depth=2
                                        ; =>    This Inner Loop Header: Depth=3
	s_waitcnt lgkmcnt(0)
	v_add_co_u32_e64 v16, s[26:27], v30, v0
	v_addc_co_u32_e64 v17, s[26:27], v31, v1, s[26:27]
	flat_load_ubyte v34, v[16:17] glc slc
	v_add_co_u32_e64 v16, s[26:27], v2, v0
	v_addc_co_u32_e64 v17, s[26:27], v3, v1, s[26:27]
	s_waitcnt vmcnt(0) lgkmcnt(0)
	flat_store_byte v[16:17], v34 glc slc
	s_and_saveexec_b64 s[52:53], vcc
	s_cbranch_execz .LBB7_178
; %bb.180:                              ;   in Loop: Header=BB7_179 Depth=3
	ds_read_b64 v[16:17], v46 offset:592
	s_waitcnt lgkmcnt(0)
	v_add_co_u32_e64 v16, s[26:27], v32, v16
	v_addc_co_u32_e64 v17, s[26:27], v33, v17, s[26:27]
	flat_store_byte v[16:17], v34 glc slc
	s_branch .LBB7_178
.LBB7_181:                              ;   in Loop: Header=BB7_53 Depth=2
	s_or_b64 exec, exec, s[28:29]
	v_cmp_ne_u32_e32 vcc, 0, v27
	v_and_b32_e32 v0, 16, v51
	s_and_b64 s[26:27], vcc, s[48:49]
	v_cmp_ne_u32_e32 vcc, 0, v0
	s_and_b64 s[26:27], s[26:27], vcc
	s_and_saveexec_b64 s[28:29], s[26:27]
	s_cbranch_execz .LBB7_185
; %bb.182:                              ;   in Loop: Header=BB7_53 Depth=2
	flat_load_dwordx2 v[0:1], v[24:25] offset:16
	s_waitcnt vmcnt(0) lgkmcnt(0)
	v_cmp_ne_u64_e32 vcc, 0, v[0:1]
	s_and_saveexec_b64 s[48:49], vcc
	s_cbranch_execz .LBB7_184
; %bb.183:                              ;   in Loop: Header=BB7_53 Depth=2
	ds_read_b32 v2, v0 offset:12
	v_and_b32_e32 v3, 7, v22
	v_mad_u64_u32 v[0:1], vcc, v3, 24, v[0:1]
	s_waitcnt lgkmcnt(0)
	v_add_u32_e32 v2, v2, v45
	v_ashrrev_i32_e32 v3, 31, v2
	flat_store_dwordx2 v[0:1], v[2:3] offset:8
.LBB7_184:                              ;   in Loop: Header=BB7_53 Depth=2
	s_or_b64 exec, exec, s[48:49]
	flat_load_dwordx2 v[0:1], v[24:25] offset:8
	v_add_co_u32_e32 v22, vcc, 1, v22
	v_addc_co_u32_e32 v23, vcc, 0, v23, vcc
	flat_store_dwordx2 v[24:25], v[22:23]
	s_waitcnt vmcnt(0) lgkmcnt(0)
	flat_store_dwordx2 v[0:1], v[22:23] offset:104 glc slc
.LBB7_185:                              ;   in Loop: Header=BB7_53 Depth=2
	s_or_b64 exec, exec, s[28:29]
	v_cmp_ne_u32_e32 vcc, 0, v26
	v_and_b32_e32 v0, 32, v51
	s_and_b64 s[28:29], s[46:47], vcc
	v_cmp_ne_u32_e32 vcc, 0, v0
	s_and_b64 s[28:29], s[28:29], vcc
	s_and_saveexec_b64 s[46:47], s[28:29]
	s_cbranch_execz .LBB7_187
; %bb.186:                              ;   in Loop: Header=BB7_53 Depth=2
	flat_load_dwordx2 v[0:1], v[24:25] offset:8
	v_add_co_u32_e32 v22, vcc, 1, v22
	v_addc_co_u32_e32 v23, vcc, 0, v23, vcc
	flat_store_dwordx2 v[24:25], v[22:23]
	s_waitcnt vmcnt(0) lgkmcnt(0)
	flat_store_dwordx2 v[0:1], v[22:23] offset:104 glc slc
.LBB7_187:                              ;   in Loop: Header=BB7_53 Depth=2
	s_or_b64 exec, exec, s[46:47]
	ds_read_b32 v0, v0
	s_waitcnt lgkmcnt(0)
	v_cmp_lt_i32_e32 vcc, -1, v0
	s_and_saveexec_b64 s[46:47], vcc
	s_xor_b64 s[46:47], exec, s[46:47]
	s_cbranch_execz .LBB7_202
; %bb.188:                              ;   in Loop: Header=BB7_53 Depth=2
	v_and_b32_e32 v0, 4, v51
	v_cmp_ne_u32_e32 vcc, 0, v0
	s_and_saveexec_b64 s[48:49], vcc
	s_cbranch_execz .LBB7_190
; %bb.189:                              ;   in Loop: Header=BB7_53 Depth=2
	flat_load_dword v11, v[24:25] offset:64
	ds_read2_b32 v[0:1], v0 offset0:2 offset1:4
	s_waitcnt lgkmcnt(0)
	v_add_u32_e32 v2, v0, v45
	v_ashrrev_i32_e32 v0, 31, v1
	v_add_co_u32_e32 v16, vcc, v22, v1
	v_ashrrev_i32_e32 v3, 31, v2
	v_addc_co_u32_e32 v17, vcc, v23, v0, vcc
	s_waitcnt vmcnt(0)
	v_ashrrev_i32_e32 v26, 31, v11
	v_mad_u64_u32 v[0:1], vcc, v16, v11, v[2:3]
	v_mul_lo_u32 v2, v16, v26
	v_mul_lo_u32 v3, v17, v11
	v_add3_u32 v1, v3, v1, v2
	flat_atomic_smax_x2 v[24:25], v[0:1] offset:56
.LBB7_190:                              ;   in Loop: Header=BB7_53 Depth=2
	s_or_b64 exec, exec, s[48:49]
                                        ; implicit-def: $vgpr28_vgpr29
	s_andn2_saveexec_b64 s[46:47], s[46:47]
	s_cbranch_execnz .LBB7_203
.LBB7_191:                              ;   in Loop: Header=BB7_53 Depth=2
	s_or_b64 exec, exec, s[46:47]
	s_and_saveexec_b64 s[24:25], s[16:17]
	s_xor_b64 s[24:25], exec, s[24:25]
	s_cbranch_execz .LBB7_209
.LBB7_192:                              ;   in Loop: Header=BB7_53 Depth=2
	s_and_saveexec_b64 s[46:47], s[18:19]
	s_cbranch_execz .LBB7_218
; %bb.193:                              ;   in Loop: Header=BB7_53 Depth=2
	s_mov_b64 s[50:51], exec
	v_mbcnt_lo_u32_b32 v0, s50, 0
	v_mbcnt_hi_u32_b32 v0, s51, v0
	v_cmp_eq_u32_e32 vcc, 0, v0
	s_waitcnt vmcnt(0) lgkmcnt(0)
	buffer_wbinvl1_vol
	s_and_saveexec_b64 s[48:49], vcc
	s_cbranch_execz .LBB7_195
; %bb.194:                              ;   in Loop: Header=BB7_53 Depth=2
	s_bcnt1_i32_b64 vcc_lo, s[50:51]
	v_mov_b32_e32 v0, vcc_lo
	v_mov_b32_e32 v1, v4
	ds_add_u64 v0, v[0:1]
	s_trap 2
.LBB7_195:                              ;   in Loop: Header=BB7_53 Depth=2
	s_or_b64 exec, exec, s[48:49]
	s_trap 2
	ds_read_b64 v[0:1], v0
	v_add_co_u32_e32 v14, vcc, 2, v14
	v_addc_co_u32_e32 v15, vcc, 0, v15, vcc
	s_waitcnt lgkmcnt(0)
	v_cmp_lt_u64_e32 vcc, v[0:1], v[14:15]
	s_and_saveexec_b64 s[48:49], vcc
	s_cbranch_execz .LBB7_217
; %bb.196:                              ;   in Loop: Header=BB7_53 Depth=2
	s_mov_b32 s60, 0
	s_mov_b64 s[50:51], 0
                                        ; implicit-def: $sgpr52_sgpr53
                                        ; implicit-def: $sgpr54_sgpr55
	s_branch .LBB7_198
.LBB7_197:                              ;   in Loop: Header=BB7_198 Depth=3
	s_or_b64 exec, exec, s[58:59]
	s_and_b64 vcc, exec, vcc
	s_or_b64 s[50:51], vcc, s[50:51]
	s_andn2_b64 vcc, s[52:53], exec
	s_and_b64 s[52:53], s[54:55], exec
	s_or_b64 s[52:53], vcc, s[52:53]
	s_andn2_b64 exec, exec, s[50:51]
	s_cbranch_execz .LBB7_215
.LBB7_198:                              ;   Parent Loop BB7_4 Depth=1
                                        ;     Parent Loop BB7_53 Depth=2
                                        ; =>    This Inner Loop Header: Depth=3
	s_add_i32 s60, s60, 1
	s_cmpk_lg_i32 s60, 0x2710
	s_cselect_b64 s[56:57], -1, 0
	s_and_b64 vcc, exec, s[56:57]
                                        ; implicit-def: $sgpr58_sgpr59
	s_cbranch_vccnz .LBB7_200
; %bb.199:                              ;   in Loop: Header=BB7_198 Depth=3
	s_trap 2
	ds_read_b64 v[0:1], v0
	s_andn2_b64 s[56:57], s[56:57], exec
	s_mov_b32 s60, 0
	s_mov_b64 s[58:59], -1
	s_waitcnt lgkmcnt(0)
	flat_load_dword v0, v[0:1] glc
	s_waitcnt vmcnt(0) lgkmcnt(0)
	buffer_invl2
	buffer_wbinvl1_vol
	v_cmp_eq_u32_e32 vcc, 0, v0
	s_and_b64 vcc, vcc, exec
	s_or_b64 s[56:57], s[56:57], vcc
.LBB7_200:                              ;   in Loop: Header=BB7_198 Depth=3
	s_andn2_b64 s[54:55], s[54:55], exec
	s_and_b64 s[58:59], s[58:59], exec
	s_mov_b64 vcc, -1
	s_or_b64 s[54:55], s[54:55], s[58:59]
	s_and_saveexec_b64 s[58:59], s[56:57]
	s_cbranch_execz .LBB7_197
; %bb.201:                              ;   in Loop: Header=BB7_198 Depth=3
	s_sleep 1
	s_trap 2
	ds_read_b64 v[0:1], v0
	s_andn2_b64 s[54:55], s[54:55], exec
	s_waitcnt lgkmcnt(0)
	v_cmp_ge_u64_e32 vcc, v[0:1], v[14:15]
	s_orn2_b64 vcc, vcc, exec
	s_branch .LBB7_197
.LBB7_202:                              ;   in Loop: Header=BB7_53 Depth=2
	s_andn2_saveexec_b64 s[46:47], s[46:47]
	s_cbranch_execz .LBB7_191
.LBB7_203:                              ;   in Loop: Header=BB7_53 Depth=2
	s_and_saveexec_b64 s[48:49], s[24:25]
	s_cbranch_execz .LBB7_208
; %bb.204:                              ;   in Loop: Header=BB7_53 Depth=2
	s_mov_b64 s[50:51], exec
	s_mov_b64 s[24:25], s[30:31]
.LBB7_205:                              ;   Parent Loop BB7_4 Depth=1
                                        ;     Parent Loop BB7_53 Depth=2
                                        ; =>    This Inner Loop Header: Depth=3
	s_ff1_i32_b64 s52, s[50:51]
	v_readlane_b32 s53, v29, s52
	v_readlane_b32 s54, v28, s52
	v_mov_b32_e32 v0, s54
	v_mov_b32_e32 v1, s53
	v_cmp_gt_i64_e32 vcc, s[24:25], v[0:1]
	s_and_b64 vcc, vcc, exec
	s_cselect_b32 s25, s25, s53
	s_cselect_b32 s24, s24, s54
	s_lshl_b64 vcc, 1, s52
	s_andn2_b64 s[50:51], s[50:51], vcc
	s_cmp_lg_u64 s[50:51], 0
	s_cbranch_scc1 .LBB7_205
; %bb.206:                              ;   in Loop: Header=BB7_53 Depth=2
	v_mbcnt_lo_u32_b32 v0, exec_lo, 0
	v_mbcnt_hi_u32_b32 v0, exec_hi, v0
	v_cmp_eq_u32_e32 vcc, 0, v0
	s_and_saveexec_b64 s[50:51], vcc
	s_xor_b64 s[50:51], exec, s[50:51]
	s_cbranch_execz .LBB7_208
; %bb.207:                              ;   in Loop: Header=BB7_53 Depth=2
	v_pk_mov_b32 v[0:1], s[24:25], s[24:25] op_sel:[0,1]
	ds_max_i64 v0, v[0:1]
	s_trap 2
.LBB7_208:                              ;   in Loop: Header=BB7_53 Depth=2
	s_or_b64 exec, exec, s[48:49]
	s_or_b64 exec, exec, s[46:47]
	s_and_saveexec_b64 s[24:25], s[16:17]
	s_xor_b64 s[24:25], exec, s[24:25]
	s_cbranch_execnz .LBB7_192
.LBB7_209:                              ;   in Loop: Header=BB7_53 Depth=2
	s_andn2_saveexec_b64 s[24:25], s[24:25]
	s_cbranch_execz .LBB7_219
.LBB7_210:                              ;   in Loop: Header=BB7_53 Depth=2
	s_waitcnt vmcnt(0) lgkmcnt(0)
	buffer_wbinvl1_vol
	s_barrier
	s_or_b64 exec, exec, s[24:25]
	s_and_saveexec_b64 s[24:25], s[26:27]
	s_cbranch_execnz .LBB7_220
.LBB7_211:                              ;   in Loop: Header=BB7_53 Depth=2
	s_or_b64 exec, exec, s[24:25]
	s_and_saveexec_b64 s[24:25], s[28:29]
	s_cbranch_execz .LBB7_213
.LBB7_212:                              ;   in Loop: Header=BB7_53 Depth=2
	flat_load_dwordx2 v[0:1], v[24:25] offset:32
	s_waitcnt vmcnt(0) lgkmcnt(0)
	flat_store_dwordx2 v[0:1], v[22:23] glc slc
.LBB7_213:                              ;   in Loop: Header=BB7_53 Depth=2
	s_or_b64 exec, exec, s[24:25]
	s_or_b64 exec, exec, s[44:45]
	s_and_saveexec_b64 s[24:25], s[22:23]
	s_cbranch_execz .LBB7_52
.LBB7_214:                              ;   in Loop: Header=BB7_53 Depth=2
	ds_write_b32 v0, v4 offset:36
	s_branch .LBB7_52
.LBB7_215:                              ;   in Loop: Header=BB7_53 Depth=2
	s_or_b64 exec, exec, s[50:51]
	s_and_saveexec_b64 vcc, s[52:53]
	s_xor_b64 vcc, exec, vcc
	s_cbranch_execz .LBB7_217
; %bb.216:                              ;   in Loop: Header=BB7_53 Depth=2
	ds_write_b32 v0, v48
	s_trap 2
.LBB7_217:                              ;   in Loop: Header=BB7_53 Depth=2
	s_or_b64 exec, exec, s[48:49]
	;;#ASMSTART
	s_wakeup
	;;#ASMEND
.LBB7_218:                              ;   in Loop: Header=BB7_53 Depth=2
	s_or_b64 exec, exec, s[46:47]
	s_andn2_saveexec_b64 s[24:25], s[24:25]
	s_cbranch_execnz .LBB7_210
.LBB7_219:                              ;   in Loop: Header=BB7_53 Depth=2
	s_or_b64 exec, exec, s[24:25]
	s_and_saveexec_b64 s[24:25], s[26:27]
	s_cbranch_execz .LBB7_211
.LBB7_220:                              ;   in Loop: Header=BB7_53 Depth=2
	flat_load_dwordx2 v[0:1], v[24:25] offset:40
	s_waitcnt vmcnt(0) lgkmcnt(0)
	flat_store_dwordx2 v[0:1], v[22:23] glc slc
	s_or_b64 exec, exec, s[24:25]
	s_and_saveexec_b64 s[24:25], s[28:29]
	s_cbranch_execnz .LBB7_212
	s_branch .LBB7_213
.LBB7_221:                              ;   in Loop: Header=BB7_4 Depth=1
	s_or_b64 exec, exec, s[42:43]
	v_and_b32_e32 v0, 0x800, v51
	v_cmp_eq_u32_e32 vcc, 0, v0
	s_and_b64 exec, exec, vcc
	s_cbranch_execz .LBB7_251
; %bb.222:                              ;   in Loop: Header=BB7_4 Depth=1
	v_and_b32_e32 v0, 48, v51
	v_cmp_ne_u32_e32 vcc, 0, v0
	s_and_saveexec_b64 s[20:21], vcc
	s_cbranch_execz .LBB7_224
; %bb.223:                              ;   in Loop: Header=BB7_4 Depth=1
	v_mov_b32_e32 v0, 0x68
	v_mov_b32_e32 v1, 0
	flat_store_dwordx2 v[0:1], v[22:23]
.LBB7_224:                              ;   in Loop: Header=BB7_4 Depth=1
	s_or_b64 exec, exec, s[20:21]
	v_and_b32_e32 v0, 0x88, v51
	v_cmp_eq_u32_e32 vcc, s65, v0
	s_and_saveexec_b64 s[20:21], vcc
	s_cbranch_execz .LBB7_235
; %bb.225:                              ;   in Loop: Header=BB7_4 Depth=1
	v_add_u32_e32 v0, -1, v22
	v_and_b32_e32 v0, 7, v0
	v_mad_u64_u32 v[0:1], s[22:23], v0, 24, 8
	s_mov_b64 s[22:23], 0
	v_mov_b32_e32 v2, 0
                                        ; implicit-def: $sgpr24_sgpr25
	s_branch .LBB7_230
.LBB7_226:                              ;   in Loop: Header=BB7_230 Depth=2
	s_or_b64 exec, exec, s[46:47]
	v_mov_b32_e32 v3, 0
	s_orn2_b64 s[44:45], s[44:45], exec
.LBB7_227:                              ;   in Loop: Header=BB7_230 Depth=2
	s_or_b64 exec, exec, s[42:43]
	s_and_b64 s[42:43], s[44:45], exec
	v_mov_b32_e32 v2, v3
.LBB7_228:                              ;   in Loop: Header=BB7_230 Depth=2
	s_or_b64 exec, exec, s[28:29]
	s_xor_b64 s[28:29], s[42:43], -1
	s_andn2_b64 s[24:25], s[24:25], exec
	s_and_b64 s[28:29], s[28:29], exec
	s_or_b64 s[24:25], s[24:25], s[28:29]
.LBB7_229:                              ;   in Loop: Header=BB7_230 Depth=2
	s_or_b64 exec, exec, s[26:27]
	s_and_b64 s[26:27], exec, s[24:25]
	s_or_b64 s[22:23], s[26:27], s[22:23]
	s_andn2_b64 exec, exec, s[22:23]
	s_cbranch_execz .LBB7_235
.LBB7_230:                              ;   Parent Loop BB7_4 Depth=1
                                        ; =>  This Inner Loop Header: Depth=2
	flat_load_dwordx2 v[10:11], v[0:1] glc
	s_waitcnt vmcnt(0)
	s_or_b64 s[24:25], s[24:25], exec
	s_waitcnt lgkmcnt(0)
	v_cmp_ne_u64_e32 vcc, -1, v[10:11]
	s_and_saveexec_b64 s[26:27], vcc
	s_cbranch_execz .LBB7_229
; %bb.231:                              ;   in Loop: Header=BB7_230 Depth=2
	v_and_b32_e32 v3, 64, v51
	v_cmp_eq_u32_e32 vcc, 0, v3
	s_mov_b64 s[42:43], 0
	s_and_saveexec_b64 s[28:29], vcc
	s_cbranch_execz .LBB7_228
; %bb.232:                              ;   in Loop: Header=BB7_230 Depth=2
	v_add_u32_e32 v3, 1, v2
	v_cmp_lt_i32_e32 vcc, s34, v2
	s_mov_b64 s[44:45], -1
	s_and_saveexec_b64 s[42:43], vcc
	s_cbranch_execz .LBB7_227
; %bb.233:                              ;   in Loop: Header=BB7_230 Depth=2
	s_trap 2
	ds_read_b64 v[2:3], v0
	s_waitcnt lgkmcnt(0)
	flat_load_dword v2, v[2:3] glc
	s_waitcnt vmcnt(0) lgkmcnt(0)
	buffer_invl2
	buffer_wbinvl1_vol
	v_cmp_ne_u32_e32 vcc, 0, v2
	s_and_saveexec_b64 s[46:47], vcc
	s_cbranch_execz .LBB7_226
; %bb.234:                              ;   in Loop: Header=BB7_230 Depth=2
	v_or_b32_e32 v51, 64, v51
	s_xor_b64 s[44:45], exec, -1
	ds_write_b32 v0, v2
	s_trap 2
	s_branch .LBB7_226
.LBB7_235:                              ;   in Loop: Header=BB7_4 Depth=1
	s_or_b64 exec, exec, s[20:21]
	v_cmp_ne_u32_e32 vcc, 1, v8
	s_and_b64 exec, exec, vcc
	s_cbranch_execz .LBB7_251
; %bb.236:                              ;   in Loop: Header=BB7_4 Depth=1
	s_and_saveexec_b64 s[20:21], s[16:17]
	s_xor_b64 s[16:17], exec, s[20:21]
	s_cbranch_execz .LBB7_249
; %bb.237:                              ;   in Loop: Header=BB7_4 Depth=1
	s_and_saveexec_b64 s[20:21], s[18:19]
	s_cbranch_execz .LBB7_248
; %bb.238:                              ;   in Loop: Header=BB7_4 Depth=1
	v_mov_b32_e32 v0, 1
	v_mov_b32_e32 v1, 0
	s_waitcnt vmcnt(0) lgkmcnt(0)
	buffer_wbinvl1_vol
	ds_add_u64 v0, v[0:1] offset:272
	ds_read_b64 v[0:1], v0 offset:272
	v_ashrrev_i32_e32 v9, 31, v8
	s_waitcnt lgkmcnt(0)
	v_cmp_lt_u64_e32 vcc, v[0:1], v[8:9]
	s_and_saveexec_b64 s[18:19], vcc
	s_cbranch_execz .LBB7_247
; %bb.239:                              ;   in Loop: Header=BB7_4 Depth=1
	s_mov_b32 s44, 0
	s_mov_b64 s[22:23], 0
                                        ; implicit-def: $sgpr24_sgpr25
                                        ; implicit-def: $sgpr26_sgpr27
	s_branch .LBB7_241
.LBB7_240:                              ;   in Loop: Header=BB7_241 Depth=2
	s_or_b64 exec, exec, s[42:43]
	s_and_b64 s[28:29], exec, vcc
	s_or_b64 s[22:23], s[28:29], s[22:23]
	s_andn2_b64 s[24:25], s[24:25], exec
	s_and_b64 s[28:29], s[26:27], exec
	s_or_b64 s[24:25], s[24:25], s[28:29]
	s_andn2_b64 exec, exec, s[22:23]
	s_cbranch_execz .LBB7_245
.LBB7_241:                              ;   Parent Loop BB7_4 Depth=1
                                        ; =>  This Inner Loop Header: Depth=2
	s_add_i32 s44, s44, 1
	s_cmpk_lg_i32 s44, 0x2710
	s_cselect_b64 s[28:29], -1, 0
	s_and_b64 vcc, exec, s[28:29]
                                        ; implicit-def: $sgpr42_sgpr43
	s_cbranch_vccnz .LBB7_243
; %bb.242:                              ;   in Loop: Header=BB7_241 Depth=2
	s_trap 2
	ds_read_b64 v[0:1], v0
	s_andn2_b64 s[28:29], s[28:29], exec
	s_mov_b32 s44, 0
	s_mov_b64 s[42:43], -1
	s_waitcnt lgkmcnt(0)
	flat_load_dword v0, v[0:1] glc
	s_waitcnt vmcnt(0) lgkmcnt(0)
	buffer_invl2
	buffer_wbinvl1_vol
	v_cmp_eq_u32_e32 vcc, 0, v0
	s_and_b64 vcc, vcc, exec
	s_or_b64 s[28:29], s[28:29], vcc
.LBB7_243:                              ;   in Loop: Header=BB7_241 Depth=2
	s_andn2_b64 s[26:27], s[26:27], exec
	s_and_b64 s[42:43], s[42:43], exec
	s_mov_b64 vcc, -1
	s_or_b64 s[26:27], s[26:27], s[42:43]
	s_and_saveexec_b64 s[42:43], s[28:29]
	s_cbranch_execz .LBB7_240
; %bb.244:                              ;   in Loop: Header=BB7_241 Depth=2
	s_sleep 1
	ds_read_b64 v[0:1], v0 offset:272
	s_andn2_b64 s[26:27], s[26:27], exec
	s_waitcnt lgkmcnt(0)
	v_cmp_ge_u64_e32 vcc, v[0:1], v[8:9]
	s_orn2_b64 vcc, vcc, exec
	s_branch .LBB7_240
.LBB7_245:                              ;   in Loop: Header=BB7_4 Depth=1
	s_or_b64 exec, exec, s[22:23]
	s_and_saveexec_b64 s[22:23], s[24:25]
	s_xor_b64 s[22:23], exec, s[22:23]
	s_cbranch_execz .LBB7_247
; %bb.246:                              ;   in Loop: Header=BB7_4 Depth=1
	ds_write_b32 v0, v48
	s_trap 2
.LBB7_247:                              ;   in Loop: Header=BB7_4 Depth=1
	s_or_b64 exec, exec, s[18:19]
	;;#ASMSTART
	s_wakeup
	;;#ASMEND
.LBB7_248:                              ;   in Loop: Header=BB7_4 Depth=1
	s_or_b64 exec, exec, s[20:21]
.LBB7_249:                              ;   in Loop: Header=BB7_4 Depth=1
	s_andn2_saveexec_b64 s[16:17], s[16:17]
	s_cbranch_execz .LBB7_251
; %bb.250:                              ;   in Loop: Header=BB7_4 Depth=1
	s_waitcnt vmcnt(0) lgkmcnt(0)
	buffer_wbinvl1_vol
	s_barrier
.LBB7_251:                              ;   in Loop: Header=BB7_4 Depth=1
	s_or_b64 exec, exec, s[40:41]
                                        ; implicit-def: $vgpr2_vgpr3
                                        ; implicit-def: $vgpr10
                                        ; implicit-def: $vgpr8_vgpr9
                                        ; implicit-def: $vgpr14_vgpr15
                                        ; implicit-def: $vgpr12_vgpr13
.LBB7_252:                              ;   in Loop: Header=BB7_4 Depth=1
	s_andn2_saveexec_b64 s[16:17], s[38:39]
	s_cbranch_execz .LBB7_3
; %bb.253:                              ;   in Loop: Header=BB7_4 Depth=1
	v_add_co_u32_e32 v1, vcc, v10, v8
	v_addc_co_u32_e32 v5, vcc, v11, v9, vcc
	v_add_co_u32_e32 v7, vcc, v12, v2
	v_and_b32_e32 v0, 0x3ffffe00, v14
	v_addc_co_u32_e32 v8, vcc, v13, v3, vcc
	buffer_store_dword v13, off, s[0:3], s32 offset:4
	buffer_store_dword v12, off, s[0:3], s32
	buffer_store_dword v8, off, s[0:3], s32 offset:12
	buffer_store_dword v7, off, s[0:3], s32 offset:8
	;; [unrolled: 1-line block ×5, first 2 shown]
	v_mov_b32_e32 v1, s70
	buffer_store_dword v1, off, s[0:3], s32 offset:36
	v_mov_b32_e32 v1, s71
	buffer_store_dword v1, off, s[0:3], s32 offset:32
	v_sub_u32_e64 v1, s70, 1 clamp
	v_readfirstlane_b32 s16, v1
	s_flbit_i32_b32 s16, s16
	s_sub_i32 s16, 32, s16
	s_lshl_b32 s16, 1, s16
	s_cmp_gt_u32 s70, 1
	s_cselect_b32 s22, s16, 1
	s_lshr_b32 s16, s70, 31
	v_mov_b32_e32 v1, s22
	s_add_i32 s70, s70, s16
	buffer_store_dword v1, off, s[0:3], s32 offset:40
	buffer_store_dword v1, off, s[0:3], s32 offset:68
	;; [unrolled: 1-line block ×4, first 2 shown]
	v_mov_b32_e32 v1, v4
	s_ashr_i32 s21, s70, 1
	s_mov_b32 s23, 1
	s_branch .LBB7_255
.LBB7_254:                              ;   in Loop: Header=BB7_255 Depth=2
	s_andn2_b64 vcc, exec, s[18:19]
	s_cbranch_vccz .LBB7_259
.LBB7_255:                              ;   Parent Loop BB7_4 Depth=1
                                        ; =>  This Inner Loop Header: Depth=2
	s_mov_b32 s24, s23
	s_ashr_i32 s16, s23, 31
	v_mul_hi_u32 v5, v2, s24
	v_mul_lo_u32 v7, v2, s16
	v_add_u32_e32 v5, v5, v7
	v_mul_lo_u32 v7, v3, s24
	v_add_u32_e32 v9, v5, v7
	v_mul_lo_u32 v8, v2, s24
	v_cmp_lt_u64_e32 vcc, v[0:1], v[8:9]
	s_mov_b32 s20, s22
	v_pk_mov_b32 v[10:11], 0, 0
	s_cbranch_vccnz .LBB7_257
; %bb.256:                              ;   in Loop: Header=BB7_255 Depth=2
	v_cvt_f32_u32_e32 v5, v8
	v_sub_u32_e32 v7, 0, v8
	v_mov_b32_e32 v11, v4
	v_rcp_iflag_f32_e32 v5, v5
	v_mul_f32_e32 v5, 0x4f7ffffe, v5
	v_cvt_u32_f32_e32 v5, v5
	v_mul_lo_u32 v7, v7, v5
	v_mul_hi_u32 v7, v5, v7
	v_add_u32_e32 v5, v5, v7
	v_mul_hi_u32 v5, v0, v5
	v_mul_lo_u32 v9, v5, v8
	v_sub_u32_e32 v9, v0, v9
	v_add_u32_e32 v7, 1, v5
	v_sub_u32_e32 v10, v9, v8
	v_cmp_ge_u32_e32 vcc, v9, v8
	v_cndmask_b32_e32 v9, v9, v10, vcc
	v_cndmask_b32_e32 v5, v5, v7, vcc
	v_add_u32_e32 v7, 1, v5
	v_cmp_ge_u32_e32 vcc, v9, v8
	v_cndmask_b32_e32 v10, v5, v7, vcc
.LBB7_257:                              ;   in Loop: Header=BB7_255 Depth=2
	s_cmp_lt_i32 s24, s21
	s_cselect_b64 s[16:17], -1, 0
	s_cmp_ge_i32 s24, s21
	v_cmp_gt_u64_e32 vcc, 2, v[10:11]
	s_cselect_b64 s[22:23], -1, 0
	s_or_b64 s[22:23], s[22:23], vcc
	s_mov_b64 s[18:19], -1
	s_and_b64 vcc, exec, s[22:23]
                                        ; implicit-def: $sgpr23
                                        ; implicit-def: $sgpr22
	s_cbranch_vccnz .LBB7_254
; %bb.258:                              ;   in Loop: Header=BB7_255 Depth=2
	s_lshr_b32 s18, s20, 31
	s_lshl_b32 s23, s24, 1
	s_add_i32 s18, s20, s18
	v_mov_b32_e32 v5, s23
	s_ashr_i32 s22, s18, 1
	buffer_store_dword v5, off, s[0:3], s32 offset:56
	v_mov_b32_e32 v5, s22
	s_mov_b64 s[18:19], 0
	buffer_store_dword v5, off, s[0:3], s32 offset:68
	s_branch .LBB7_254
.LBB7_259:                              ;   in Loop: Header=BB7_4 Depth=1
	v_mov_b32_e32 v5, s24
	s_cmp_gt_i32 s24, 1
	s_mov_b32 s25, 2
	buffer_store_dword v5, off, s[0:3], s32 offset:44
	s_cbranch_scc1 .LBB7_261
; %bb.260:                              ;   in Loop: Header=BB7_4 Depth=1
	v_mov_b32_e32 v5, s24
	s_mov_b32 s25, s24
	buffer_store_dword v5, off, s[0:3], s32 offset:52
.LBB7_261:                              ;   in Loop: Header=BB7_4 Depth=1
	s_andn2_b64 vcc, exec, s[16:17]
	s_cbranch_vccnz .LBB7_266
; %bb.262:                              ;   in Loop: Header=BB7_4 Depth=1
	s_lshr_b32 s17, s20, 31
	s_lshl_b32 s16, s24, 1
	s_add_i32 s17, s20, s17
	v_mov_b32_e32 v5, s16
	s_ashr_i32 s17, s17, 1
	buffer_store_dword v5, off, s[0:3], s32 offset:56
	v_mov_b32_e32 v5, s17
	s_cmp_ge_i32 s16, s21
	buffer_store_dword v5, off, s[0:3], s32 offset:68
	s_cbranch_scc1 .LBB7_265
; %bb.263:                              ;   in Loop: Header=BB7_4 Depth=1
	s_ashr_i32 s18, s20, 31
	s_lshr_b32 s17, s18, 30
	s_lshl_b32 s16, s24, 2
	s_add_i32 s17, s20, s17
	v_mov_b32_e32 v5, s16
	s_ashr_i32 s17, s17, 2
	buffer_store_dword v5, off, s[0:3], s32 offset:56
	v_mov_b32_e32 v5, s17
	s_cmp_ge_i32 s16, s21
	buffer_store_dword v5, off, s[0:3], s32 offset:68
	s_cbranch_scc1 .LBB7_265
; %bb.264:                              ;   in Loop: Header=BB7_4 Depth=1
	s_lshr_b32 s17, s18, 29
	s_lshl_b32 s16, s24, 3
	s_add_i32 s17, s20, s17
	v_mov_b32_e32 v5, s16
	s_ashr_i32 s17, s17, 3
	buffer_store_dword v5, off, s[0:3], s32 offset:56
	v_mov_b32_e32 v5, s17
	buffer_store_dword v5, off, s[0:3], s32 offset:68
.LBB7_265:                              ;   in Loop: Header=BB7_4 Depth=1
	s_mov_b32 s24, s16
	s_mov_b32 s20, s17
.LBB7_266:                              ;   in Loop: Header=BB7_4 Depth=1
	v_sub_u32_e64 v5, s20, 1 clamp
	v_readfirstlane_b32 s16, v5
	s_flbit_i32_b32 s16, s16
	s_sub_i32 s18, 32, s16
	s_cmp_lt_u32 s20, 2
	s_cselect_b64 s[16:17], -1, 0
	s_and_b64 vcc, s[16:17], exec
	v_cmp_lt_i64_e64 s[16:17], v[0:1], v[2:3]
	s_cselect_b32 s27, 0, s18
	v_cndmask_b32_e64 v0, v2, v0, s[16:17]
	s_lshr_b32 s16, s24, 31
	s_add_i32 s16, s24, s16
	s_ashr_i32 s26, s16, 1
	s_add_i32 s16, s24, -2
	s_cmp_lt_u32 s16, -3
	s_cselect_b64 s[16:17], -1, 0
	s_and_b64 s[18:19], s[16:17], exec
	buffer_store_dword v0, off, s[0:3], s32 offset:28
	v_mov_b32_e32 v0, s26
	s_cselect_b32 s18, 2, 1
	v_mov_b32_e32 v5, s27
	buffer_store_dword v0, off, s[0:3], s32 offset:72
	v_mov_b32_e32 v0, s18
	buffer_store_dword v5, off, s[0:3], s32 offset:80
	buffer_store_dword v0, off, s[0:3], s32 offset:76
	buffer_store_dword v4, off, s[0:3], s32 offset:84
	v_mov_b32_e32 v0, 0
	s_cbranch_vccnz .LBB7_282
; %bb.267:                              ;   in Loop: Header=BB7_4 Depth=1
	s_cmp_gt_u32 s27, 1
	s_cbranch_scc0 .LBB7_271
; %bb.268:                              ;   in Loop: Header=BB7_4 Depth=1
	s_and_b32 s20, s27, 62
	s_mov_b32 s18, s27
	s_mov_b32 s19, 1
	;; [unrolled: 1-line block ×4, first 2 shown]
	v_mov_b32_e32 v0, v21
.LBB7_269:                              ;   Parent Loop BB7_4 Depth=1
                                        ; =>  This Inner Loop Header: Depth=2
	s_sub_i32 s28, s18, s19
	s_sub_i32 s23, s27, s21
	s_add_i32 s21, s21, 2
	s_add_i32 s19, s19, 2
	s_add_i32 s22, s22, -2
	v_mov_b32_e32 v1, s28
	buffer_store_dword v48, v0, s[0:3], 0 offen offset:132
	buffer_store_dword v48, v0, s[0:3], 0 offen offset:128
	v_mov_b32_e32 v2, s23
	s_cmp_lg_u32 s22, 0
	buffer_store_dword v1, v0, s[0:3], 0 offen offset:4
	buffer_store_dword v2, v0, s[0:3], 0 offen
	v_add_u32_e32 v0, 8, v0
	s_cbranch_scc1 .LBB7_269
; %bb.270:                              ;   in Loop: Header=BB7_4 Depth=1
	s_cmp_lg_u32 s27, s20
	s_cselect_b64 s[18:19], -1, 0
	s_and_b64 vcc, exec, s[18:19]
	s_cbranch_vccnz .LBB7_272
	s_branch .LBB7_274
.LBB7_271:                              ;   in Loop: Header=BB7_4 Depth=1
	s_mov_b32 s20, 0
	s_cbranch_execz .LBB7_274
.LBB7_272:                              ;   in Loop: Header=BB7_4 Depth=1
	s_lshl_b32 s18, s20, 2
	v_add_u32_e32 v0, s18, v21
	s_sub_i32 s18, s27, s20
.LBB7_273:                              ;   Parent Loop BB7_4 Depth=1
                                        ; =>  This Inner Loop Header: Depth=2
	v_mov_b32_e32 v1, s18
	s_add_i32 s18, s18, -1
	buffer_store_dword v48, v0, s[0:3], 0 offen offset:128
	buffer_store_dword v1, v0, s[0:3], 0 offen
	s_cmp_eq_u32 s18, 0
	v_add_u32_e32 v0, 4, v0
	s_cbranch_scc0 .LBB7_273
.LBB7_274:                              ;   in Loop: Header=BB7_4 Depth=1
	s_mov_b32 s28, 0
	v_mov_b32_e32 v0, 0
	v_mov_b32_e32 v1, v21
	s_branch .LBB7_278
.LBB7_275:                              ;   in Loop: Header=BB7_278 Depth=2
	s_or_b64 exec, exec, s[22:23]
	v_add_u32_e32 v0, 1, v3
	buffer_store_dword v0, v1, s[0:3], 0 offen offset:128
.LBB7_276:                              ;   in Loop: Header=BB7_278 Depth=2
	s_or_b64 exec, exec, s[20:21]
	v_mov_b32_e32 v0, v2
.LBB7_277:                              ;   in Loop: Header=BB7_278 Depth=2
	s_or_b64 exec, exec, s[18:19]
	s_add_i32 s28, s28, 1
	s_cmp_lg_u32 s27, s28
	v_add_u32_e32 v1, 4, v1
	s_cbranch_scc0 .LBB7_282
.LBB7_278:                              ;   Parent Loop BB7_4 Depth=1
                                        ; =>  This Inner Loop Header: Depth=2
	buffer_load_dword v2, v1, s[0:3], 0 offen
	s_waitcnt vmcnt(0)
	v_add_u32_e32 v2, -1, v2
	v_cmp_eq_u32_e32 vcc, 0, v2
	buffer_store_dword v2, v1, s[0:3], 0 offen
	s_and_saveexec_b64 s[18:19], vcc
	s_cbranch_execz .LBB7_277
; %bb.279:                              ;   in Loop: Header=BB7_278 Depth=2
	s_lshl_b32 s29, 1, s28
	v_xor_b32_e32 v2, s29, v0
	v_mov_b32_e32 v3, s29
	buffer_store_dword v2, off, s[0:3], s32 offset:84
	buffer_store_dword v3, v1, s[0:3], 0 offen
	v_and_b32_e32 v3, s29, v0
	v_cmp_ne_u32_e32 vcc, 0, v3
	s_and_saveexec_b64 s[20:21], vcc
	s_cbranch_execz .LBB7_276
; %bb.280:                              ;   in Loop: Header=BB7_278 Depth=2
	buffer_load_dword v3, v1, s[0:3], 0 offen offset:128
	v_mov_b32_e32 v5, s27
	s_waitcnt vmcnt(0)
	v_ffbl_b32_e32 v7, v3
	v_cmp_eq_u32_e32 vcc, 0, v3
	v_cndmask_b32_e32 v5, v7, v5, vcc
	v_add3_u32 v5, s29, -1, v5
	v_cmp_eq_u32_e32 vcc, 0, v5
	buffer_store_dword v5, v1, s[0:3], 0 offen
	s_and_saveexec_b64 s[22:23], vcc
	s_cbranch_execz .LBB7_275
; %bb.281:                              ;   in Loop: Header=BB7_278 Depth=2
	v_mov_b32_e32 v2, s29
	buffer_store_dword v0, off, s[0:3], s32 offset:84
	buffer_store_dword v2, v1, s[0:3], 0 offen
	v_mov_b32_e32 v2, v0
	s_branch .LBB7_275
.LBB7_282:                              ;   in Loop: Header=BB7_4 Depth=1
	s_andn2_b64 vcc, exec, s[16:17]
	buffer_store_dword v0, off, s[0:3], s32 offset:60
	buffer_store_dword v4, off, s[0:3], s32 offset:64
	s_cbranch_vccnz .LBB7_284
; %bb.283:                              ;   in Loop: Header=BB7_4 Depth=1
	s_lshl_b32 s16, s26, 1
	s_ashr_i32 s17, s26, 31
	s_add_i32 s16, s16, s17
	s_xor_b32 s16, s16, s17
	v_cvt_f32_u32_e32 v0, s16
	s_ashr_i32 s18, s24, 31
	s_xor_b32 s17, s18, s17
	s_sub_i32 s18, 0, s16
	v_rcp_iflag_f32_e32 v0, v0
	s_abs_i32 s19, s24
	v_mul_f32_e32 v0, 0x4f7ffffe, v0
	v_cvt_u32_f32_e32 v0, v0
	v_readfirstlane_b32 s20, v0
	s_mul_i32 s18, s18, s20
	s_mul_hi_u32 s18, s20, s18
	s_add_i32 s20, s20, s18
	s_mul_hi_u32 s18, s19, s20
	s_mul_i32 s20, s18, s16
	s_sub_i32 s19, s19, s20
	s_add_i32 s21, s18, 1
	s_sub_i32 s20, s19, s16
	s_cmp_ge_u32 s19, s16
	s_cselect_b32 s18, s21, s18
	s_cselect_b32 s19, s20, s19
	s_add_i32 s20, s18, 1
	s_cmp_ge_u32 s19, s16
	s_cselect_b32 s16, s20, s18
	s_xor_b32 s16, s16, s17
	s_sub_i32 s24, s16, s17
.LBB7_284:                              ;   in Loop: Header=BB7_4 Depth=1
	v_mov_b32_e32 v0, s24
	buffer_store_dword v0, off, s[0:3], s32 offset:48
	v_mov_b32_e32 v0, s25
	s_mov_b32 s50, 0
	s_mov_b64 s[26:27], 0
	ds_write_b32 v0, v0
	s_trap 2
	s_branch .LBB7_287
.LBB7_285:                              ;   in Loop: Header=BB7_287 Depth=2
	s_or_b64 exec, exec, s[16:17]
	s_andn2_b64 s[22:23], s[22:23], exec
.LBB7_286:                              ;   in Loop: Header=BB7_287 Depth=2
	s_or_b64 exec, exec, s[20:21]
	s_add_i32 s50, s50, 1
	s_and_b64 s[16:17], exec, s[22:23]
	v_cndmask_b32_e64 v0, 1, 3, s[18:19]
	s_or_b64 s[26:27], s[16:17], s[26:27]
	ds_write_b32 v0, v0 offset:36
	s_andn2_b64 exec, exec, s[26:27]
	s_cbranch_execz .LBB7_2
.LBB7_287:                              ;   Parent Loop BB7_4 Depth=1
                                        ; =>  This Loop Header: Depth=2
                                        ;       Child Loop BB7_288 Depth 3
                                        ;       Child Loop BB7_350 Depth 3
	;; [unrolled: 1-line block ×5, first 2 shown]
	s_trap 2
.LBB7_288:                              ;   Parent Loop BB7_4 Depth=1
                                        ;     Parent Loop BB7_287 Depth=2
                                        ; =>    This Inner Loop Header: Depth=3
	ds_read_b32 v0, v0 offset:36
	s_waitcnt lgkmcnt(0)
	v_cmp_ne_u32_e32 vcc, 0, v0
	s_cbranch_vccnz .LBB7_288
; %bb.289:                              ;   in Loop: Header=BB7_287 Depth=2
	buffer_load_dword v0, off, s[0:3], s32
	buffer_load_dword v1, off, s[0:3], s32 offset:4
	buffer_load_dword v9, off, s[0:3], s32 offset:28
	;; [unrolled: 1-line block ×5, first 2 shown]
	s_mov_b64 s[18:19], -1
	s_waitcnt vmcnt(0)
	ds_write2_b32 v0, v9, v4 offset0:7 offset1:8
	ds_write_b64 v0, v[0:1] offset:40
	v_cmp_lt_i32_e32 vcc, v10, v11
	s_and_saveexec_b64 s[28:29], vcc
	s_cbranch_execz .LBB7_325
; %bb.290:                              ;   in Loop: Header=BB7_287 Depth=2
	v_cmp_lt_i32_e32 vcc, 0, v7
                                        ; implicit-def: $sgpr16_sgpr17
	s_and_saveexec_b64 s[18:19], vcc
	s_xor_b64 s[38:39], exec, s[18:19]
	s_cbranch_execz .LBB7_318
; %bb.291:                              ;   in Loop: Header=BB7_287 Depth=2
	v_cmp_lt_i32_e32 vcc, 1, v7
                                        ; implicit-def: $sgpr40_sgpr41
	s_and_saveexec_b64 s[16:17], vcc
	s_xor_b64 s[20:21], exec, s[16:17]
	s_cbranch_execz .LBB7_303
; %bb.292:                              ;   in Loop: Header=BB7_287 Depth=2
	v_cmp_eq_u32_e32 vcc, 2, v7
	s_mov_b64 s[16:17], 0
	s_and_saveexec_b64 s[22:23], vcc
	s_cbranch_execz .LBB7_302
; %bb.293:                              ;   in Loop: Header=BB7_287 Depth=2
	buffer_load_dword v5, off, s[0:3], s32 offset:44
	buffer_load_dword v2, off, s[0:3], s32 offset:68
	buffer_load_dword v3, off, s[0:3], s32 offset:72
	v_sub_u32_e32 v14, 0, v10
	v_max_i32_e32 v18, v10, v14
	v_lshlrev_b32_e32 v12, 1, v10
	v_ashrrev_i32_e32 v15, 31, v10
	v_or_b32_e32 v16, 1, v12
                                        ; implicit-def: $sgpr16_sgpr17
	s_waitcnt vmcnt(2)
	v_sub_u32_e32 v8, 0, v5
	v_max_i32_e32 v8, v5, v8
	v_cvt_f32_u32_e32 v13, v8
	s_waitcnt vmcnt(0)
	v_mul_lo_u32 v14, v2, v3
	v_rcp_iflag_f32_e32 v17, v13
	v_ashrrev_i32_e32 v13, 31, v5
	v_mul_f32_e32 v2, 0x4f7ffffe, v17
	v_cvt_u32_f32_e32 v3, v2
	v_mul_lo_u32 v2, v14, v16
	v_xor_b32_e32 v16, v15, v13
	v_sub_u32_e32 v15, 0, v8
	v_mul_lo_u32 v15, v15, v3
	v_mul_hi_u32 v15, v3, v15
	v_add_u32_e32 v15, v3, v15
	v_mul_hi_u32 v3, v18, v15
	v_mul_lo_u32 v17, v3, v8
	v_sub_u32_e32 v17, v18, v17
	v_add_u32_e32 v19, 1, v3
	v_cmp_ge_u32_e32 vcc, v17, v8
	v_sub_u32_e32 v18, v17, v8
	v_cndmask_b32_e32 v3, v3, v19, vcc
	v_cndmask_b32_e32 v17, v17, v18, vcc
	v_add_u32_e32 v18, 1, v3
	v_cmp_ge_u32_e32 vcc, v17, v8
	v_cndmask_b32_e32 v3, v3, v18, vcc
	v_xor_b32_e32 v3, v3, v16
	v_sub_u32_e32 v3, v3, v16
	v_mul_lo_u32 v16, v3, v5
	v_sub_u32_e32 v17, v10, v16
	v_add_u32_e32 v16, -1, v5
	v_cmp_ne_u32_e32 vcc, v17, v16
                                        ; implicit-def: $vgpr16
	s_and_saveexec_b64 s[18:19], vcc
	s_xor_b64 s[18:19], exec, s[18:19]
	s_cbranch_execz .LBB7_295
; %bb.294:                              ;   in Loop: Header=BB7_287 Depth=2
	buffer_load_dword v16, off, s[0:3], s32 offset:36
	v_lshl_add_u32 v18, v14, 1, v2
	s_waitcnt vmcnt(0)
	v_cmp_ge_i32_e32 vcc, v18, v16
	s_and_b64 s[16:17], vcc, exec
.LBB7_295:                              ;   in Loop: Header=BB7_287 Depth=2
	s_andn2_saveexec_b64 s[18:19], s[18:19]
	s_cbranch_execz .LBB7_297
; %bb.296:                              ;   in Loop: Header=BB7_287 Depth=2
	buffer_load_dword v16, off, s[0:3], s32 offset:36
	s_or_b64 s[16:17], s[16:17], exec
.LBB7_297:                              ;   in Loop: Header=BB7_287 Depth=2
	s_or_b64 exec, exec, s[18:19]
	buffer_load_dword v18, off, s[0:3], s32 offset:40
	buffer_load_dword v19, off, s[0:3], s32 offset:32
	;; [unrolled: 1-line block ×4, first 2 shown]
	s_waitcnt vmcnt(4)
	v_sub_u32_e32 v23, 0, v16
	v_max_i32_e32 v23, v16, v23
	v_cvt_f32_u32_e32 v24, v23
	v_cndmask_b32_e64 v25, 0, 1, s[16:17]
	v_mul_lo_u32 v17, v17, v9
	ds_write2_b32 v0, v4, v25 offset0:5 offset1:6
	ds_write2_b32 v0, v17, v3 offset0:3 offset1:4
	v_rcp_iflag_f32_e32 v24, v24
	v_sub_u32_e32 v3, 0, v23
	v_ffbl_b32_e32 v26, v2
	v_cmp_eq_u32_e64 s[16:17], 0, v14
	v_mul_f32_e32 v24, 0x4f7ffffe, v24
	v_cvt_u32_f32_e32 v24, v24
	v_cmp_ge_i32_e32 vcc, v2, v16
                                        ; implicit-def: $sgpr24_sgpr25
	v_mul_lo_u32 v3, v3, v24
	v_mul_hi_u32 v3, v24, v3
	v_add_u32_e32 v17, v24, v3
	s_waitcnt vmcnt(3)
	v_cndmask_b32_e64 v3, v26, v18, s[16:17]
	v_lshl_add_u32 v2, -1, v3, v2
	s_waitcnt vmcnt(2)
	v_add3_u32 v16, v2, v16, v19
	v_sub_u32_e32 v19, 0, v16
	v_ashrrev_i32_e32 v18, 31, v16
	v_max_i32_e32 v16, v16, v19
	v_mul_hi_u32 v17, v16, v17
	v_mul_lo_u32 v17, v17, v23
	v_sub_u32_e32 v16, v16, v17
	v_sub_u32_e32 v17, v16, v23
	v_cmp_ge_u32_e64 s[18:19], v16, v23
	v_cndmask_b32_e64 v16, v16, v17, s[18:19]
	v_sub_u32_e32 v17, v16, v23
	v_cmp_ge_u32_e64 s[18:19], v16, v23
	v_cndmask_b32_e64 v16, v16, v17, s[18:19]
	v_xor_b32_e32 v16, v16, v18
	v_sub_u32_e32 v16, v16, v18
	v_ashrrev_i32_e32 v18, 31, v16
	s_waitcnt vmcnt(1)
	v_mul_lo_u32 v19, v20, v16
	s_waitcnt vmcnt(0)
	v_mad_u64_u32 v[16:17], s[18:19], v22, v16, v[0:1]
	v_mul_lo_u32 v18, v22, v18
	v_cmp_ne_u32_e64 s[16:17], 0, v2
	v_add3_u32 v17, v19, v17, v18
	v_ffbl_b32_e32 v2, v2
	ds_write2_b64 v0, v[2:3], v[16:17] offset1:6
	s_and_saveexec_b64 s[18:19], s[16:17]
	s_xor_b64 s[18:19], exec, s[18:19]
	s_cbranch_execz .LBB7_299
; %bb.298:                              ;   in Loop: Header=BB7_287 Depth=2
	v_mul_lo_u32 v3, v14, v12
	v_add_u32_e32 v2, 1, v2
	v_ashrrev_i32_e32 v2, v2, v3
	v_sub_u32_e32 v12, 0, v2
	v_ashrrev_i32_e32 v3, 31, v2
	v_max_i32_e32 v12, v2, v12
	v_xor_b32_e32 v3, v3, v13
	v_mul_hi_u32 v13, v12, v15
	v_mul_lo_u32 v14, v13, v8
	v_sub_u32_e32 v12, v12, v14
	v_add_u32_e32 v14, 1, v13
	v_cmp_ge_u32_e64 s[16:17], v12, v8
	v_cndmask_b32_e64 v13, v13, v14, s[16:17]
	v_sub_u32_e32 v14, v12, v8
	v_cndmask_b32_e64 v12, v12, v14, s[16:17]
	v_add_u32_e32 v14, 1, v13
	v_cmp_ge_u32_e64 s[16:17], v12, v8
	v_cndmask_b32_e64 v8, v13, v14, s[16:17]
	v_xor_b32_e32 v8, v8, v3
	v_sub_u32_e32 v3, v8, v3
	v_mul_lo_u32 v5, v3, v5
	v_sub_u32_e32 v2, v2, v5
	v_mul_lo_u32 v2, v2, v9
	ds_write2_b32 v0, v2, v3 offset0:2 offset1:4
	s_and_b64 s[24:25], vcc, exec
.LBB7_299:                              ;   in Loop: Header=BB7_287 Depth=2
	s_andn2_saveexec_b64 s[16:17], s[18:19]
	s_cbranch_execz .LBB7_301
; %bb.300:                              ;   in Loop: Header=BB7_287 Depth=2
	s_andn2_b64 s[18:19], s[24:25], exec
	s_and_b64 s[24:25], vcc, exec
	s_or_b64 s[24:25], s[18:19], s[24:25]
	ds_write_b32 v0, v50 offset:8
.LBB7_301:                              ;   in Loop: Header=BB7_287 Depth=2
	s_or_b64 exec, exec, s[16:17]
	s_and_b64 s[16:17], s[24:25], exec
.LBB7_302:                              ;   in Loop: Header=BB7_287 Depth=2
	s_or_b64 exec, exec, s[22:23]
	s_and_b64 s[40:41], s[16:17], exec
                                        ; implicit-def: $vgpr9
.LBB7_303:                              ;   in Loop: Header=BB7_287 Depth=2
	s_andn2_saveexec_b64 s[42:43], s[20:21]
	s_cbranch_execz .LBB7_317
; %bb.304:                              ;   in Loop: Header=BB7_287 Depth=2
	buffer_load_dword v2, off, s[0:3], s32 offset:68
	buffer_load_dword v5, off, s[0:3], s32 offset:36
	buffer_load_dword v12, off, s[0:3], s32 offset:44
	buffer_load_dword v8, off, s[0:3], s32 offset:60
	buffer_load_dword v3, off, s[0:3], s32 offset:40
	buffer_load_dword v23, off, s[0:3], s32 offset:32
	buffer_load_dword v17, off, s[0:3], s32 offset:20
	buffer_load_dword v16, off, s[0:3], s32 offset:16
	v_sub_u32_e32 v13, 0, v10
	v_ashrrev_i32_e32 v14, 31, v10
	v_max_i32_e32 v24, v10, v13
	s_waitcnt vmcnt(7)
	v_mul_lo_u32 v18, v2, v10
	s_waitcnt vmcnt(6)
	v_sub_u32_e32 v20, 0, v5
	s_waitcnt vmcnt(5)
	v_sub_u32_e32 v22, 0, v12
	v_max_i32_e32 v25, v5, v20
	v_max_i32_e32 v20, v12, v22
	v_cvt_f32_u32_e32 v27, v25
	v_cvt_f32_u32_e32 v29, v20
	v_ashrrev_i32_e32 v19, 31, v12
	s_waitcnt vmcnt(4)
	v_add_u32_e32 v13, v18, v8
	v_rcp_iflag_f32_e32 v27, v27
	v_rcp_iflag_f32_e32 v29, v29
	v_xor_b32_e32 v26, v14, v19
	v_ffbl_b32_e32 v14, v13
	v_cmp_eq_u32_e32 vcc, 0, v13
	s_waitcnt vmcnt(3)
	v_cndmask_b32_e32 v3, v14, v3, vcc
	v_mul_f32_e32 v27, 0x4f7ffffe, v27
	v_mul_f32_e32 v29, 0x4f7ffffe, v29
	v_lshlrev_b32_e64 v22, v3, -1
	v_cvt_u32_f32_e32 v27, v27
	v_cvt_u32_f32_e32 v29, v29
	v_add_u32_e32 v14, v22, v13
	s_waitcnt vmcnt(2)
	v_add3_u32 v23, v23, v5, v14
	v_sub_u32_e32 v28, 0, v25
	v_sub_u32_e32 v30, 0, v20
	;; [unrolled: 1-line block ×3, first 2 shown]
	v_ashrrev_i32_e32 v31, 31, v23
	v_max_i32_e32 v32, v23, v32
	v_mul_lo_u32 v23, v28, v27
	v_mul_lo_u32 v28, v30, v29
	v_mul_hi_u32 v23, v27, v23
	v_mul_hi_u32 v28, v29, v28
	v_add_u32_e32 v27, v27, v23
	v_add_u32_e32 v23, v29, v28
	v_mul_hi_u32 v28, v24, v23
	v_mul_lo_u32 v29, v28, v20
	v_mul_hi_u32 v27, v32, v27
	v_sub_u32_e32 v24, v24, v29
	v_mul_lo_u32 v27, v27, v25
	v_add_u32_e32 v30, 1, v28
	v_cmp_ge_u32_e32 vcc, v24, v20
	v_sub_u32_e32 v27, v32, v27
	v_cndmask_b32_e32 v28, v28, v30, vcc
	v_sub_u32_e32 v30, v24, v20
	v_sub_u32_e32 v29, v27, v25
	v_cmp_ge_u32_e64 s[24:25], v27, v25
	v_cndmask_b32_e32 v24, v24, v30, vcc
	v_cndmask_b32_e64 v27, v27, v29, s[24:25]
	v_add_u32_e32 v29, 1, v28
	v_cmp_ge_u32_e32 vcc, v24, v20
	v_sub_u32_e32 v30, v27, v25
	v_cndmask_b32_e32 v24, v28, v29, vcc
	v_cmp_ge_u32_e32 vcc, v27, v25
	v_cndmask_b32_e32 v25, v27, v30, vcc
	v_xor_b32_e32 v24, v24, v26
	v_xor_b32_e32 v25, v25, v31
	v_sub_u32_e32 v24, v24, v26
	v_sub_u32_e32 v25, v25, v31
	v_mul_lo_u32 v28, v24, v12
	v_add_u32_e32 v15, -1, v12
	v_add_u32_e32 v2, v13, v2
	v_ashrrev_i32_e32 v29, 31, v25
	s_waitcnt vmcnt(1)
	v_mul_lo_u32 v17, v17, v25
	s_waitcnt vmcnt(0)
	v_mad_u64_u32 v[26:27], s[24:25], v16, v25, v[0:1]
	v_sub_u32_e32 v25, v10, v28
	v_cmp_ge_i32_e64 s[18:19], v2, v5
	v_cmp_eq_u32_e64 s[24:25], v25, v15
	v_cmp_gt_i32_e64 s[20:21], v2, v5
	s_or_b64 s[18:19], s[24:25], s[18:19]
	v_cmp_eq_u32_e32 vcc, 0, v3
	v_mul_lo_u32 v28, v16, v29
	v_mul_lo_u32 v16, v25, v9
	v_cndmask_b32_e64 v25, 0, 1, s[18:19]
	s_or_b64 s[18:19], s[24:25], s[20:21]
	v_add3_u32 v27, v17, v27, v28
	s_and_b64 s[18:19], vcc, s[18:19]
	v_cmp_ne_u32_e64 s[16:17], 0, v3
	v_cmp_ne_u32_e64 s[22:23], 0, v14
	v_ffbl_b32_e32 v2, v14
	v_cndmask_b32_e64 v24, v24, 0, vcc
	v_mov_b32_e32 v17, v16
	ds_write_b64 v0, v[26:27] offset:48
	ds_write2_b64 v0, v[2:3], v[16:17] offset1:1
	ds_write_b32 v0, v25 offset:24
	v_cndmask_b32_e64 v25, 0, 1, s[18:19]
	ds_write_b64 v0, v[24:25] offset:16
	s_and_saveexec_b64 s[18:19], s[22:23]
	s_xor_b64 s[20:21], exec, s[18:19]
	s_cbranch_execz .LBB7_312
; %bb.305:                              ;   in Loop: Header=BB7_287 Depth=2
	v_sub_u32_e32 v3, 0, v8
	v_cmp_eq_u32_e64 s[18:19], v22, v3
	s_and_saveexec_b64 s[22:23], s[18:19]
	s_cbranch_execz .LBB7_311
; %bb.306:                              ;   in Loop: Header=BB7_287 Depth=2
	v_add_u32_e32 v3, 1, v2
	v_ashrrev_i32_e32 v3, v3, v18
	v_sub_u32_e32 v16, 0, v3
	v_max_i32_e32 v16, v3, v16
	v_mul_hi_u32 v17, v16, v23
	v_mul_lo_u32 v18, v17, v20
	v_sub_u32_e32 v16, v16, v18
	v_add_u32_e32 v18, 1, v17
	v_cmp_ge_u32_e64 s[18:19], v16, v20
	v_cndmask_b32_e64 v17, v17, v18, s[18:19]
	v_sub_u32_e32 v18, v16, v20
	v_cndmask_b32_e64 v16, v16, v18, s[18:19]
	v_ashrrev_i32_e32 v8, 31, v3
	v_add_u32_e32 v18, 1, v17
	v_cmp_ge_u32_e64 s[18:19], v16, v20
	v_xor_b32_e32 v8, v8, v19
	v_cndmask_b32_e64 v16, v17, v18, s[18:19]
	v_xor_b32_e32 v16, v16, v8
	v_sub_u32_e32 v8, v16, v8
	v_mul_lo_u32 v12, v8, v12
	v_sub_u32_e32 v12, v3, v12
	v_mul_lo_u32 v9, v12, v9
	ds_write_b32 v0, v9 offset:8
                                        ; implicit-def: $sgpr18
	s_and_saveexec_b64 s[24:25], s[16:17]
	s_xor_b64 s[16:17], exec, s[24:25]
; %bb.307:                              ;   in Loop: Header=BB7_287 Depth=2
	s_mov_b32 s18, 0
                                        ; implicit-def: $vgpr12
                                        ; implicit-def: $vgpr15
                                        ; implicit-def: $vgpr3
                                        ; implicit-def: $vgpr2
; %bb.308:                              ;   in Loop: Header=BB7_287 Depth=2
	s_or_saveexec_b64 s[24:25], s[16:17]
	v_mov_b32_e32 v9, s18
	s_xor_b64 exec, exec, s[24:25]
; %bb.309:                              ;   in Loop: Header=BB7_287 Depth=2
	v_lshlrev_b32_e32 v3, 1, v3
	v_add_lshl_u32 v2, v3, 3, v2
	v_cmp_eq_u32_e64 s[16:17], v12, v15
	v_cmp_ge_i32_e64 s[18:19], v2, v5
	s_or_b64 s[16:17], s[16:17], s[18:19]
	v_cndmask_b32_e64 v9, 0, 1, s[16:17]
	v_mov_b32_e32 v8, 0
; %bb.310:                              ;   in Loop: Header=BB7_287 Depth=2
	s_or_b64 exec, exec, s[24:25]
	ds_write_b64 v0, v[8:9] offset:16
.LBB7_311:                              ;   in Loop: Header=BB7_287 Depth=2
	s_or_b64 exec, exec, s[22:23]
.LBB7_312:                              ;   in Loop: Header=BB7_287 Depth=2
	s_andn2_saveexec_b64 s[16:17], s[20:21]
	s_cbranch_execz .LBB7_314
; %bb.313:                              ;   in Loop: Header=BB7_287 Depth=2
	ds_write2_b32 v0, v50, v4 offset0:2 offset1:5
.LBB7_314:                              ;   in Loop: Header=BB7_287 Depth=2
	s_or_b64 exec, exec, s[16:17]
	v_cmp_ge_i32_e64 s[18:19], v13, v5
	v_cmp_lt_i32_e64 s[16:17], v14, v5
	s_and_b64 s[16:17], s[18:19], s[16:17]
	s_and_b64 s[20:21], vcc, s[16:17]
	s_and_saveexec_b64 s[16:17], s[20:21]
	s_cbranch_execz .LBB7_316
; %bb.315:                              ;   in Loop: Header=BB7_287 Depth=2
	s_andn2_b64 s[18:19], s[18:19], exec
	ds_write2_b32 v0, v50, v50 offset0:1 offset1:3
	ds_write_b32 v0, v4 offset:24
.LBB7_316:                              ;   in Loop: Header=BB7_287 Depth=2
	s_or_b64 exec, exec, s[16:17]
	s_andn2_b64 s[16:17], s[40:41], exec
	s_and_b64 s[18:19], s[18:19], exec
	s_or_b64 s[40:41], s[16:17], s[18:19]
.LBB7_317:                              ;   in Loop: Header=BB7_287 Depth=2
	s_or_b64 exec, exec, s[42:43]
	s_and_b64 s[16:17], s[40:41], exec
                                        ; implicit-def: $vgpr9
.LBB7_318:                              ;   in Loop: Header=BB7_287 Depth=2
	s_andn2_saveexec_b64 s[18:19], s[38:39]
	s_cbranch_execz .LBB7_324
; %bb.319:                              ;   in Loop: Header=BB7_287 Depth=2
	v_cmp_eq_u32_e32 vcc, 0, v7
	s_mov_b64 s[22:23], 0
	s_and_saveexec_b64 s[20:21], vcc
	s_cbranch_execz .LBB7_323
; %bb.320:                              ;   in Loop: Header=BB7_287 Depth=2
	buffer_load_dword v2, off, s[0:3], s32 offset:60
	buffer_load_dword v12, off, s[0:3], s32 offset:68
	;; [unrolled: 1-line block ×7, first 2 shown]
	v_sub_u32_e32 v3, 0, v10
	v_max_i32_e32 v18, v10, v3
	v_ashrrev_i32_e32 v17, 31, v10
	v_mov_b32_e32 v5, v50
	ds_write2_b32 v0, v50, v4 offset0:3 offset1:4
	ds_write_b64 v0, v[4:5]
	v_mov_b32_e32 v5, v4
	s_waitcnt vmcnt(5)
	v_mad_u64_u32 v[2:3], s[22:23], v12, v10, v[2:3]
	s_waitcnt vmcnt(4)
	v_sub_u32_e32 v3, 0, v8
	s_waitcnt vmcnt(3)
	v_sub_u32_e32 v19, 0, v13
	v_max_i32_e32 v3, v8, v3
	v_add_u32_e32 v20, -1, v13
	v_max_i32_e32 v13, v13, v19
	v_cvt_f32_u32_e32 v19, v3
	v_cvt_f32_u32_e32 v22, v13
	s_waitcnt vmcnt(2)
	v_add_u32_e32 v14, v14, v2
	v_sub_u32_e32 v24, 0, v14
	v_rcp_iflag_f32_e32 v19, v19
	v_rcp_iflag_f32_e32 v22, v22
	v_sub_u32_e32 v25, 0, v3
	v_ashrrev_i32_e32 v23, 31, v14
	v_mul_f32_e32 v19, 0x4f7ffffe, v19
	v_mul_f32_e32 v22, 0x4f7ffffe, v22
	v_cvt_u32_f32_e32 v19, v19
	v_cvt_u32_f32_e32 v22, v22
	v_sub_u32_e32 v26, 0, v13
	v_max_i32_e32 v14, v14, v24
	v_mul_lo_u32 v24, v25, v19
	v_mul_lo_u32 v25, v26, v22
	v_mul_hi_u32 v24, v19, v24
	v_mul_hi_u32 v25, v22, v25
	v_add_u32_e32 v19, v19, v24
	v_add_u32_e32 v22, v22, v25
	v_mul_hi_u32 v19, v14, v19
	v_mul_hi_u32 v22, v18, v22
	v_mul_lo_u32 v19, v19, v3
	v_mul_lo_u32 v22, v22, v13
	v_sub_u32_e32 v14, v14, v19
	v_sub_u32_e32 v18, v18, v22
	;; [unrolled: 1-line block ×3, first 2 shown]
	v_cmp_ge_u32_e32 vcc, v14, v3
	v_sub_u32_e32 v22, v18, v13
	v_cndmask_b32_e32 v14, v14, v19, vcc
	v_cmp_ge_u32_e32 vcc, v18, v13
	v_cndmask_b32_e32 v18, v18, v22, vcc
	v_sub_u32_e32 v19, v14, v3
	v_cmp_ge_u32_e32 vcc, v14, v3
	v_sub_u32_e32 v22, v18, v13
	v_cndmask_b32_e32 v3, v14, v19, vcc
	v_cmp_ge_u32_e32 vcc, v18, v13
	v_cndmask_b32_e32 v13, v18, v22, vcc
	v_xor_b32_e32 v3, v3, v23
	v_xor_b32_e32 v13, v13, v17
	v_sub_u32_e32 v3, v3, v23
	v_sub_u32_e32 v13, v13, v17
	v_ashrrev_i32_e32 v17, 31, v3
	s_waitcnt vmcnt(1)
	v_mul_lo_u32 v18, v15, v3
	s_waitcnt vmcnt(0)
	v_mad_u64_u32 v[14:15], s[22:23], v16, v3, v[0:1]
	v_mul_lo_u32 v3, v13, v9
	v_mul_lo_u32 v9, v16, v17
	v_cmp_ne_u32_e32 vcc, v13, v20
	ds_write_b32 v0, v3 offset:8
	v_add3_u32 v15, v18, v15, v9
	v_mov_b32_e32 v3, 1
	ds_write2_b64 v0, v[4:5], v[14:15] offset0:5 offset1:6
	s_and_saveexec_b64 s[22:23], vcc
; %bb.321:                              ;   in Loop: Header=BB7_287 Depth=2
	v_add_u32_e32 v3, v2, v12
	v_cmp_ge_i32_e32 vcc, v3, v8
	v_cndmask_b32_e64 v3, 0, 1, vcc
; %bb.322:                              ;   in Loop: Header=BB7_287 Depth=2
	s_or_b64 exec, exec, s[22:23]
	v_cmp_ge_i32_e32 vcc, v2, v8
	s_and_b64 s[22:23], vcc, exec
	ds_write2_b32 v0, v3, v4 offset0:5 offset1:6
.LBB7_323:                              ;   in Loop: Header=BB7_287 Depth=2
	s_or_b64 exec, exec, s[20:21]
	s_andn2_b64 s[16:17], s[16:17], exec
	s_and_b64 s[20:21], s[22:23], exec
	s_or_b64 s[16:17], s[16:17], s[20:21]
.LBB7_324:                              ;   in Loop: Header=BB7_287 Depth=2
	s_or_b64 exec, exec, s[18:19]
	s_orn2_b64 s[18:19], s[16:17], exec
.LBB7_325:                              ;   in Loop: Header=BB7_287 Depth=2
	s_or_b64 exec, exec, s[28:29]
	buffer_load_dword v2, off, s[0:3], s32 offset:52
	v_add_u32_e32 v3, 1, v10
	buffer_store_dword v3, off, s[0:3], s32 offset:64
                                        ; implicit-def: $sgpr22_sgpr23
	s_waitcnt vmcnt(1)
	v_max_i32_e32 v5, v11, v2
	v_cmp_le_i32_e32 vcc, v5, v3
	s_and_saveexec_b64 s[16:17], vcc
	s_xor_b64 s[20:21], exec, s[16:17]
	s_cbranch_execz .LBB7_382
; %bb.326:                              ;   in Loop: Header=BB7_287 Depth=2
	v_cmp_lt_i32_e32 vcc, 1, v7
                                        ; implicit-def: $vgpr2
	s_and_saveexec_b64 s[16:17], vcc
	s_xor_b64 s[16:17], exec, s[16:17]
	s_cbranch_execz .LBB7_330
; %bb.327:                              ;   in Loop: Header=BB7_287 Depth=2
	v_cmp_eq_u32_e32 vcc, 2, v7
	v_mov_b32_e32 v2, 1
	s_and_saveexec_b64 s[22:23], vcc
	s_cbranch_execz .LBB7_329
; %bb.328:                              ;   in Loop: Header=BB7_287 Depth=2
	buffer_load_dword v2, off, s[0:3], s32 offset:72
	s_waitcnt vmcnt(0)
	v_lshrrev_b32_e32 v3, 31, v2
	v_add_u32_e32 v5, 1, v2
	v_add_u32_e32 v2, v2, v3
	v_ashrrev_i32_e32 v2, 1, v2
	v_cmp_gt_u32_e32 vcc, 3, v5
	buffer_store_dword v2, off, s[0:3], s32 offset:72
	v_cndmask_b32_e64 v2, 2, 1, vcc
.LBB7_329:                              ;   in Loop: Header=BB7_287 Depth=2
	s_or_b64 exec, exec, s[22:23]
.LBB7_330:                              ;   in Loop: Header=BB7_287 Depth=2
	s_andn2_saveexec_b64 s[16:17], s[16:17]
	s_cbranch_execz .LBB7_334
; %bb.331:                              ;   in Loop: Header=BB7_287 Depth=2
	v_cmp_eq_u32_e32 vcc, 1, v7
	v_mov_b32_e32 v2, 1
	s_and_saveexec_b64 s[22:23], vcc
	s_cbranch_execz .LBB7_333
; %bb.332:                              ;   in Loop: Header=BB7_287 Depth=2
	buffer_load_dword v2, off, s[0:3], s32 offset:60
	s_waitcnt vmcnt(0)
	v_and_b32_e32 v2, 0x80000001, v2
	v_cmp_ne_u32_e32 vcc, 1, v2
	v_cndmask_b32_e64 v2, 0, 1, vcc
.LBB7_333:                              ;   in Loop: Header=BB7_287 Depth=2
	s_or_b64 exec, exec, s[22:23]
.LBB7_334:                              ;   in Loop: Header=BB7_287 Depth=2
	s_or_b64 exec, exec, s[16:17]
	v_cmp_eq_u32_e32 vcc, 0, v7
	v_cmp_ne_u32_e64 s[24:25], 0, v7
	s_mov_b64 s[16:17], -1
	buffer_store_dword v2, off, s[0:3], s32 offset:76
	s_and_saveexec_b64 s[22:23], s[24:25]
	s_cbranch_execz .LBB7_344
; %bb.335:                              ;   in Loop: Header=BB7_287 Depth=2
	v_cmp_eq_u32_e64 s[16:17], 1, v7
	s_mov_b64 s[38:39], 0
	s_and_saveexec_b64 s[28:29], s[16:17]
	s_cbranch_execz .LBB7_337
; %bb.336:                              ;   in Loop: Header=BB7_287 Depth=2
	buffer_load_dword v3, off, s[0:3], s32 offset:60
	s_waitcnt vmcnt(0)
	v_and_b32_e32 v3, 1, v3
	v_cmp_eq_u32_e64 s[16:17], 0, v3
	s_and_b64 s[38:39], s[16:17], exec
.LBB7_337:                              ;   in Loop: Header=BB7_287 Depth=2
	s_or_b64 exec, exec, s[28:29]
	s_orn2_b64 s[16:17], s[38:39], exec
	s_or_b64 exec, exec, s[22:23]
	s_and_saveexec_b64 s[22:23], s[16:17]
	s_cbranch_execnz .LBB7_345
.LBB7_338:                              ;   in Loop: Header=BB7_287 Depth=2
	s_or_b64 exec, exec, s[22:23]
	s_mov_b64 s[16:17], 0
	s_and_saveexec_b64 s[22:23], vcc
	s_cbranch_execz .LBB7_340
.LBB7_339:                              ;   in Loop: Header=BB7_287 Depth=2
	buffer_load_dword v3, off, s[0:3], s32 offset:68
	buffer_load_dword v5, off, s[0:3], s32 offset:60
	s_andn2_b64 s[24:25], s[24:25], exec
	s_mov_b64 s[16:17], exec
	s_waitcnt vmcnt(1)
	v_lshrrev_b32_e32 v7, 31, v3
	v_add_u32_e32 v3, v3, v7
	v_ashrrev_i32_e32 v3, 1, v3
	s_waitcnt vmcnt(0)
	v_cmp_ne_u32_e32 vcc, v5, v3
	s_and_b64 s[28:29], vcc, exec
	s_or_b64 s[24:25], s[24:25], s[28:29]
.LBB7_340:                              ;   in Loop: Header=BB7_287 Depth=2
	s_or_b64 exec, exec, s[22:23]
                                        ; implicit-def: $sgpr22_sgpr23
	s_and_saveexec_b64 s[28:29], s[24:25]
	s_xor_b64 s[24:25], exec, s[28:29]
	s_cbranch_execz .LBB7_354
; %bb.341:                              ;   in Loop: Header=BB7_287 Depth=2
	buffer_load_dword v3, off, s[0:3], s32 offset:56
	v_cmp_lt_u32_e32 vcc, 1, v2
	buffer_store_dword v4, off, s[0:3], s32 offset:64
	s_waitcnt vmcnt(1)
	buffer_store_dword v3, off, s[0:3], s32 offset:48
	s_and_saveexec_b64 s[22:23], vcc
	s_cbranch_execz .LBB7_343
; %bb.342:                              ;   in Loop: Header=BB7_287 Depth=2
	buffer_load_dword v2, off, s[0:3], s32 offset:72
	v_sub_u32_e32 v8, 0, v3
	v_max_i32_e32 v8, v3, v8
	s_waitcnt vmcnt(0)
	v_lshlrev_b32_e32 v2, 1, v2
	v_sub_u32_e32 v5, 0, v2
	v_max_i32_e32 v5, v2, v5
	v_cvt_f32_u32_e32 v7, v5
	v_xor_b32_e32 v2, v3, v2
	v_sub_u32_e32 v3, 0, v5
	v_ashrrev_i32_e32 v2, 31, v2
	v_rcp_iflag_f32_e32 v7, v7
	v_mul_f32_e32 v7, 0x4f7ffffe, v7
	v_cvt_u32_f32_e32 v7, v7
	v_mul_lo_u32 v3, v3, v7
	v_mul_hi_u32 v3, v7, v3
	v_add_u32_e32 v3, v7, v3
	v_mul_hi_u32 v3, v8, v3
	v_mul_lo_u32 v7, v3, v5
	v_sub_u32_e32 v7, v8, v7
	v_add_u32_e32 v9, 1, v3
	v_cmp_ge_u32_e32 vcc, v7, v5
	v_sub_u32_e32 v8, v7, v5
	v_cndmask_b32_e32 v3, v3, v9, vcc
	v_cndmask_b32_e32 v7, v7, v8, vcc
	v_add_u32_e32 v8, 1, v3
	v_cmp_ge_u32_e32 vcc, v7, v5
	v_cndmask_b32_e32 v3, v3, v8, vcc
	v_xor_b32_e32 v3, v3, v2
	v_sub_u32_e32 v2, v3, v2
	buffer_store_dword v2, off, s[0:3], s32 offset:48
.LBB7_343:                              ;   in Loop: Header=BB7_287 Depth=2
	s_or_b64 exec, exec, s[22:23]
	s_mov_b64 s[22:23], 0
	s_andn2_b64 s[16:17], s[16:17], exec
	s_or_b64 exec, exec, s[24:25]
	s_and_saveexec_b64 s[24:25], s[16:17]
	s_cbranch_execz .LBB7_381
	s_branch .LBB7_355
.LBB7_344:                              ;   in Loop: Header=BB7_287 Depth=2
	s_or_b64 exec, exec, s[22:23]
	s_and_saveexec_b64 s[22:23], s[16:17]
	s_cbranch_execz .LBB7_338
.LBB7_345:                              ;   in Loop: Header=BB7_287 Depth=2
	buffer_load_dword v3, off, s[0:3], s32 offset:80
	buffer_load_dword v5, off, s[0:3], s32 offset:84
	s_waitcnt vmcnt(1)
	v_cmp_lt_i32_e64 s[16:17], 0, v3
	s_and_saveexec_b64 s[28:29], s[16:17]
	s_cbranch_execz .LBB7_375
; %bb.346:                              ;   in Loop: Header=BB7_287 Depth=2
	s_mov_b32 s46, 0
	s_mov_b64 s[38:39], 0
	v_mov_b32_e32 v7, v21
	s_branch .LBB7_350
.LBB7_347:                              ;   in Loop: Header=BB7_350 Depth=3
	s_or_b64 exec, exec, s[44:45]
	v_add_u32_e32 v5, 1, v9
	buffer_store_dword v5, v7, s[0:3], 0 offen offset:128
.LBB7_348:                              ;   in Loop: Header=BB7_350 Depth=3
	s_or_b64 exec, exec, s[42:43]
	v_mov_b32_e32 v5, v8
.LBB7_349:                              ;   in Loop: Header=BB7_350 Depth=3
	s_or_b64 exec, exec, s[40:41]
	s_add_i32 s46, s46, 1
	v_cmp_eq_u32_e64 s[16:17], s46, v3
	s_or_b64 s[38:39], s[16:17], s[38:39]
	v_add_u32_e32 v7, 4, v7
	s_andn2_b64 exec, exec, s[38:39]
	s_cbranch_execz .LBB7_374
.LBB7_350:                              ;   Parent Loop BB7_4 Depth=1
                                        ;     Parent Loop BB7_287 Depth=2
                                        ; =>    This Inner Loop Header: Depth=3
	buffer_load_dword v8, v7, s[0:3], 0 offen
	s_waitcnt vmcnt(0)
	v_add_u32_e32 v8, -1, v8
	v_cmp_eq_u32_e64 s[16:17], 0, v8
	buffer_store_dword v8, v7, s[0:3], 0 offen
	s_and_saveexec_b64 s[40:41], s[16:17]
	s_cbranch_execz .LBB7_349
; %bb.351:                              ;   in Loop: Header=BB7_350 Depth=3
	s_lshl_b32 s47, 1, s46
	v_xor_b32_e32 v8, s47, v5
	v_mov_b32_e32 v9, s47
	buffer_store_dword v8, off, s[0:3], s32 offset:84
	buffer_store_dword v9, v7, s[0:3], 0 offen
	v_and_b32_e32 v9, s47, v5
	v_cmp_ne_u32_e64 s[16:17], 0, v9
	s_and_saveexec_b64 s[42:43], s[16:17]
	s_cbranch_execz .LBB7_348
; %bb.352:                              ;   in Loop: Header=BB7_350 Depth=3
	buffer_load_dword v9, v7, s[0:3], 0 offen offset:128
	s_waitcnt vmcnt(0)
	v_ffbl_b32_e32 v10, v9
	v_cmp_eq_u32_e64 s[16:17], 0, v9
	v_cndmask_b32_e64 v10, v10, v3, s[16:17]
	v_add3_u32 v10, s47, -1, v10
	v_cmp_eq_u32_e64 s[16:17], 0, v10
	buffer_store_dword v10, v7, s[0:3], 0 offen
	s_and_saveexec_b64 s[44:45], s[16:17]
	s_cbranch_execz .LBB7_347
; %bb.353:                              ;   in Loop: Header=BB7_350 Depth=3
	v_mov_b32_e32 v8, s47
	buffer_store_dword v5, off, s[0:3], s32 offset:84
	buffer_store_dword v8, v7, s[0:3], 0 offen
	v_mov_b32_e32 v8, v5
	s_branch .LBB7_347
.LBB7_354:                              ;   in Loop: Header=BB7_287 Depth=2
	s_or_b64 exec, exec, s[24:25]
	s_and_saveexec_b64 s[24:25], s[16:17]
	s_cbranch_execz .LBB7_381
.LBB7_355:                              ;   in Loop: Header=BB7_287 Depth=2
	buffer_load_dword v2, off, s[0:3], s32 offset:24
	buffer_load_dword v8, off, s[0:3], s32 offset:8
	;; [unrolled: 1-line block ×3, first 2 shown]
                                        ; implicit-def: $sgpr28_sgpr29
	s_waitcnt vmcnt(2)
	v_ashrrev_i32_e32 v3, 31, v2
	v_add_co_u32_e32 v10, vcc, v0, v2
	v_addc_co_u32_e32 v11, vcc, v1, v3, vcc
	s_waitcnt vmcnt(0)
	v_cmp_le_u64_e32 vcc, v[8:9], v[10:11]
	buffer_store_dword v10, off, s[0:3], s32
	buffer_store_dword v11, off, s[0:3], s32 offset:4
	s_and_saveexec_b64 s[16:17], vcc
	s_xor_b64 s[16:17], exec, s[16:17]
	s_cbranch_execz .LBB7_357
; %bb.356:                              ;   in Loop: Header=BB7_287 Depth=2
	s_mov_b64 s[28:29], -1
	ds_write_b32 v0, v49 offset:32
                                        ; implicit-def: $vgpr8_vgpr9
                                        ; implicit-def: $vgpr10
                                        ; implicit-def: $vgpr2_vgpr3
.LBB7_357:                              ;   in Loop: Header=BB7_287 Depth=2
	s_andn2_saveexec_b64 s[38:39], s[16:17]
	s_cbranch_execz .LBB7_380
; %bb.358:                              ;   in Loop: Header=BB7_287 Depth=2
	buffer_load_dword v5, off, s[0:3], s32 offset:56
	buffer_load_dword v0, off, s[0:3], s32 offset:80
	v_sub_co_u32_e32 v8, vcc, v8, v10
	v_subb_co_u32_e32 v9, vcc, v9, v11, vcc
	v_cmp_lt_i64_e32 vcc, v[2:3], v[8:9]
	v_cndmask_b32_e32 v1, v8, v2, vcc
	buffer_store_dword v1, off, s[0:3], s32 offset:28
	buffer_store_dword v4, off, s[0:3], s32 offset:84
	s_waitcnt vmcnt(3)
	v_lshrrev_b32_e32 v1, 31, v5
	v_add_u32_e32 v2, -2, v5
	v_add_u32_e32 v1, v5, v1
	v_cmp_gt_u32_e32 vcc, -3, v2
	s_waitcnt vmcnt(2)
	v_cmp_lt_i32_e64 s[16:17], 0, v0
	v_cndmask_b32_e64 v3, 1, 2, vcc
	v_ashrrev_i32_e32 v2, 1, v1
	v_mov_b32_e32 v1, 0
	buffer_store_dword v3, off, s[0:3], s32 offset:76
	buffer_store_dword v2, off, s[0:3], s32 offset:72
	s_and_saveexec_b64 s[40:41], s[16:17]
	s_cbranch_execz .LBB7_377
; %bb.359:                              ;   in Loop: Header=BB7_287 Depth=2
	v_cmp_ne_u32_e64 s[16:17], 1, v0
	s_mov_b64 s[44:45], -1
	v_mov_b32_e32 v3, 0
	s_and_saveexec_b64 s[42:43], s[16:17]
	s_cbranch_execz .LBB7_363
; %bb.360:                              ;   in Loop: Header=BB7_287 Depth=2
	v_and_b32_e32 v3, 0x7ffffffe, v0
	v_mov_b32_e32 v1, v0
	s_mov_b32 s46, 1
	s_mov_b32 s47, 0
	s_mov_b64 s[44:45], 0
	v_mov_b32_e32 v7, v3
	v_mov_b32_e32 v8, v21
.LBB7_361:                              ;   Parent Loop BB7_4 Depth=1
                                        ;     Parent Loop BB7_287 Depth=2
                                        ; =>    This Inner Loop Header: Depth=3
	v_add_u32_e32 v7, -2, v7
	v_subrev_u32_e32 v9, s47, v0
	v_subrev_u32_e32 v10, s46, v1
	s_add_i32 s47, s47, 2
	s_add_i32 s46, s46, 2
	v_cmp_eq_u32_e64 s[16:17], 0, v7
	buffer_store_dword v48, v8, s[0:3], 0 offen offset:132
	buffer_store_dword v48, v8, s[0:3], 0 offen offset:128
	;; [unrolled: 1-line block ×3, first 2 shown]
	buffer_store_dword v9, v8, s[0:3], 0 offen
	s_or_b64 s[44:45], s[16:17], s[44:45]
	v_add_u32_e32 v8, 8, v8
	s_andn2_b64 exec, exec, s[44:45]
	s_cbranch_execnz .LBB7_361
; %bb.362:                              ;   in Loop: Header=BB7_287 Depth=2
	s_or_b64 exec, exec, s[44:45]
	v_cmp_ne_u32_e64 s[16:17], v0, v3
	s_orn2_b64 s[44:45], s[16:17], exec
.LBB7_363:                              ;   in Loop: Header=BB7_287 Depth=2
	s_or_b64 exec, exec, s[42:43]
	s_and_saveexec_b64 s[42:43], s[44:45]
	s_cbranch_execz .LBB7_366
; %bb.364:                              ;   in Loop: Header=BB7_287 Depth=2
	v_lshl_add_u32 v1, v3, 2, v21
	v_sub_u32_e32 v3, v0, v3
	s_mov_b64 s[44:45], 0
.LBB7_365:                              ;   Parent Loop BB7_4 Depth=1
                                        ;     Parent Loop BB7_287 Depth=2
                                        ; =>    This Inner Loop Header: Depth=3
	buffer_store_dword v3, v1, s[0:3], 0 offen
	buffer_store_dword v48, v1, s[0:3], 0 offen offset:128
	v_add_u32_e32 v3, -1, v3
	v_cmp_eq_u32_e64 s[16:17], 0, v3
	s_or_b64 s[44:45], s[16:17], s[44:45]
	v_add_u32_e32 v1, 4, v1
	s_andn2_b64 exec, exec, s[44:45]
	s_cbranch_execnz .LBB7_365
.LBB7_366:                              ;   in Loop: Header=BB7_287 Depth=2
	s_or_b64 exec, exec, s[42:43]
	s_mov_b32 s51, 0
	s_mov_b64 s[42:43], 0
	v_mov_b32_e32 v1, 0
	v_mov_b32_e32 v3, v21
	s_branch .LBB7_370
.LBB7_367:                              ;   in Loop: Header=BB7_370 Depth=3
	s_or_b64 exec, exec, s[48:49]
	v_add_u32_e32 v1, 1, v8
	buffer_store_dword v1, v3, s[0:3], 0 offen offset:128
.LBB7_368:                              ;   in Loop: Header=BB7_370 Depth=3
	s_or_b64 exec, exec, s[46:47]
	v_mov_b32_e32 v1, v7
.LBB7_369:                              ;   in Loop: Header=BB7_370 Depth=3
	s_or_b64 exec, exec, s[44:45]
	s_add_i32 s51, s51, 1
	v_cmp_eq_u32_e64 s[16:17], s51, v0
	s_or_b64 s[42:43], s[16:17], s[42:43]
	v_add_u32_e32 v3, 4, v3
	s_andn2_b64 exec, exec, s[42:43]
	s_cbranch_execz .LBB7_376
.LBB7_370:                              ;   Parent Loop BB7_4 Depth=1
                                        ;     Parent Loop BB7_287 Depth=2
                                        ; =>    This Inner Loop Header: Depth=3
	buffer_load_dword v7, v3, s[0:3], 0 offen
	s_waitcnt vmcnt(0)
	v_add_u32_e32 v7, -1, v7
	v_cmp_eq_u32_e64 s[16:17], 0, v7
	buffer_store_dword v7, v3, s[0:3], 0 offen
	s_and_saveexec_b64 s[44:45], s[16:17]
	s_cbranch_execz .LBB7_369
; %bb.371:                              ;   in Loop: Header=BB7_370 Depth=3
	s_lshl_b32 s52, 1, s51
	v_xor_b32_e32 v7, s52, v1
	v_mov_b32_e32 v8, s52
	buffer_store_dword v7, off, s[0:3], s32 offset:84
	buffer_store_dword v8, v3, s[0:3], 0 offen
	v_and_b32_e32 v8, s52, v1
	v_cmp_ne_u32_e64 s[16:17], 0, v8
	s_and_saveexec_b64 s[46:47], s[16:17]
	s_cbranch_execz .LBB7_368
; %bb.372:                              ;   in Loop: Header=BB7_370 Depth=3
	buffer_load_dword v8, v3, s[0:3], 0 offen offset:128
	s_waitcnt vmcnt(0)
	v_ffbl_b32_e32 v9, v8
	v_cmp_eq_u32_e64 s[16:17], 0, v8
	v_cndmask_b32_e64 v9, v9, v0, s[16:17]
	v_add3_u32 v9, s52, -1, v9
	v_cmp_eq_u32_e64 s[16:17], 0, v9
	buffer_store_dword v9, v3, s[0:3], 0 offen
	s_and_saveexec_b64 s[48:49], s[16:17]
	s_cbranch_execz .LBB7_367
; %bb.373:                              ;   in Loop: Header=BB7_370 Depth=3
	v_mov_b32_e32 v7, s52
	buffer_store_dword v1, off, s[0:3], s32 offset:84
	buffer_store_dword v7, v3, s[0:3], 0 offen
	v_mov_b32_e32 v7, v1
	s_branch .LBB7_367
.LBB7_374:                              ;   in Loop: Header=BB7_287 Depth=2
	s_or_b64 exec, exec, s[38:39]
.LBB7_375:                              ;   in Loop: Header=BB7_287 Depth=2
	s_or_b64 exec, exec, s[28:29]
	s_waitcnt vmcnt(0)
	buffer_store_dword v5, off, s[0:3], s32 offset:60
	s_or_b64 exec, exec, s[22:23]
	s_mov_b64 s[16:17], 0
	s_and_saveexec_b64 s[22:23], vcc
	s_cbranch_execz .LBB7_340
	s_branch .LBB7_339
.LBB7_376:                              ;   in Loop: Header=BB7_287 Depth=2
	s_or_b64 exec, exec, s[42:43]
.LBB7_377:                              ;   in Loop: Header=BB7_287 Depth=2
	s_or_b64 exec, exec, s[40:41]
	buffer_store_dword v1, off, s[0:3], s32 offset:60
	buffer_store_dword v4, off, s[0:3], s32 offset:64
	s_and_saveexec_b64 s[16:17], vcc
	s_cbranch_execz .LBB7_379
; %bb.378:                              ;   in Loop: Header=BB7_287 Depth=2
	v_ashrrev_i32_e32 v0, 31, v2
	v_lshl_add_u32 v1, v2, 1, v0
	v_xor_b32_e32 v1, v1, v0
	v_cvt_f32_u32_e32 v2, v1
	v_ashrrev_i32_e32 v3, 31, v5
	v_sub_u32_e32 v7, 0, v5
	v_xor_b32_e32 v0, v3, v0
	v_rcp_iflag_f32_e32 v2, v2
	v_max_i32_e32 v3, v5, v7
	v_sub_u32_e32 v5, 0, v1
	v_mul_f32_e32 v2, 0x4f7ffffe, v2
	v_cvt_u32_f32_e32 v2, v2
	v_mul_lo_u32 v5, v5, v2
	v_mul_hi_u32 v5, v2, v5
	v_add_u32_e32 v2, v2, v5
	v_mul_hi_u32 v2, v3, v2
	v_mul_lo_u32 v5, v2, v1
	v_sub_u32_e32 v3, v3, v5
	v_add_u32_e32 v7, 1, v2
	v_cmp_ge_u32_e32 vcc, v3, v1
	v_sub_u32_e32 v5, v3, v1
	v_cndmask_b32_e32 v2, v2, v7, vcc
	v_cndmask_b32_e32 v3, v3, v5, vcc
	v_add_u32_e32 v5, 1, v2
	v_cmp_ge_u32_e32 vcc, v3, v1
	v_cndmask_b32_e32 v1, v2, v5, vcc
	v_xor_b32_e32 v1, v1, v0
	v_sub_u32_e32 v5, v1, v0
.LBB7_379:                              ;   in Loop: Header=BB7_287 Depth=2
	s_or_b64 exec, exec, s[16:17]
	s_andn2_b64 s[28:29], s[28:29], exec
	buffer_store_dword v5, off, s[0:3], s32 offset:48
.LBB7_380:                              ;   in Loop: Header=BB7_287 Depth=2
	s_or_b64 exec, exec, s[38:39]
	s_andn2_b64 s[16:17], s[22:23], exec
	s_and_b64 s[22:23], s[28:29], exec
	s_or_b64 s[22:23], s[16:17], s[22:23]
.LBB7_381:                              ;   in Loop: Header=BB7_287 Depth=2
	s_or_b64 exec, exec, s[24:25]
	s_and_b64 s[22:23], s[22:23], exec
                                        ; implicit-def: $vgpr7
                                        ; implicit-def: $vgpr0_vgpr1
                                        ; implicit-def: $vgpr11
                                        ; implicit-def: $vgpr2
                                        ; implicit-def: $vgpr10
.LBB7_382:                              ;   in Loop: Header=BB7_287 Depth=2
	s_andn2_saveexec_b64 s[20:21], s[20:21]
	s_cbranch_execz .LBB7_286
; %bb.383:                              ;   in Loop: Header=BB7_287 Depth=2
	buffer_load_dword v3, off, s[0:3], s32 offset:60
	v_cmp_eq_u32_e32 vcc, 0, v7
	s_waitcnt vmcnt(0)
	v_cmp_eq_u32_e64 s[16:17], 1, v3
	s_and_b64 s[24:25], vcc, s[16:17]
	s_and_saveexec_b64 s[16:17], s[24:25]
	s_cbranch_execz .LBB7_285
; %bb.384:                              ;   in Loop: Header=BB7_287 Depth=2
	buffer_load_dword v3, off, s[0:3], s32 offset:24
	buffer_load_dword v8, off, s[0:3], s32 offset:8
	buffer_load_dword v9, off, s[0:3], s32 offset:12
	s_waitcnt vmcnt(2)
	v_ashrrev_i32_e32 v5, 31, v3
	v_add_co_u32_e32 v0, vcc, v0, v3
	v_addc_co_u32_e32 v1, vcc, v1, v5, vcc
	s_waitcnt vmcnt(0)
	v_cmp_ge_u64_e32 vcc, v[0:1], v[8:9]
	s_and_b64 exec, exec, vcc
	s_cbranch_execz .LBB7_285
; %bb.385:                              ;   in Loop: Header=BB7_287 Depth=2
	v_sub_u32_e32 v0, 0, v2
	v_max_i32_e32 v0, v2, v0
	v_cvt_f32_u32_e32 v1, v0
	v_sub_u32_e32 v7, 0, v0
	v_add_u32_e32 v2, -1, v11
	v_sub_u32_e32 v3, 1, v11
	v_rcp_iflag_f32_e32 v1, v1
	v_max_i32_e32 v3, v2, v3
	v_ashrrev_i32_e32 v5, 31, v2
	v_mul_f32_e32 v1, 0x4f7ffffe, v1
	v_cvt_u32_f32_e32 v1, v1
	v_mul_lo_u32 v7, v7, v1
	v_mul_hi_u32 v7, v1, v7
	v_add_u32_e32 v1, v1, v7
	v_mul_hi_u32 v1, v3, v1
	v_mul_lo_u32 v1, v1, v0
	v_sub_u32_e32 v1, v3, v1
	v_sub_u32_e32 v3, v1, v0
	v_cmp_ge_u32_e32 vcc, v1, v0
	v_cndmask_b32_e32 v1, v1, v3, vcc
	v_sub_u32_e32 v3, v1, v0
	v_cmp_ge_u32_e32 vcc, v1, v0
	v_cndmask_b32_e32 v0, v1, v3, vcc
	v_xor_b32_e32 v0, v0, v5
	v_sub_u32_e32 v0, v5, v0
	v_add_u32_e32 v0, v2, v0
	v_cmp_ge_i32_e32 vcc, v10, v0
	s_and_b64 exec, exec, vcc
	s_cbranch_execz .LBB7_285
; %bb.386:                              ;   in Loop: Header=BB7_287 Depth=2
	ds_write_b32 v0, v48 offset:32
	s_branch .LBB7_285
.LBB7_387:
	v_readlane_b32 s30, v63, 38
	v_readlane_b32 s31, v63, 39
	;; [unrolled: 1-line block ×40, first 2 shown]
	v_accvgpr_read_b32 v62, a18             ;  Reload Reuse
	v_accvgpr_read_b32 v61, a17             ;  Reload Reuse
	;; [unrolled: 1-line block ×9, first 2 shown]
	v_accvgpr_read_b32 v45, a9              ;  Reload Reuse
	v_accvgpr_read_b32 v44, a8              ;  Reload Reuse
	;; [unrolled: 1-line block ×6, first 2 shown]
	s_or_saveexec_b64 s[4:5], -1
	buffer_load_dword v63, off, s[0:3], s32 offset:344 ; 4-byte Folded Reload
	s_mov_b64 exec, s[4:5]
	s_waitcnt vmcnt(0)
	s_setpc_b64 s[30:31]
.Lfunc_end7:
	.size	_Z45ncclDevFunc_AllGather_PAT_SIMPLE_Sum_i8_0_0_1v, .Lfunc_end7-_Z45ncclDevFunc_AllGather_PAT_SIMPLE_Sum_i8_0_0_1v
                                        ; -- End function
	.section	.AMDGPU.csdata,"",@progbits
; Function info:
; codeLenInByte = 15356
; NumSgprs: 76
; NumVgprs: 64
; NumAgprs: 19
; TotalNumVgprs: 83
; ScratchSize: 352
; MemoryBound: 0
	.text
	.p2align	2                               ; -- Begin function _ZN12_GLOBAL__N_17runRingIa7FuncSumIaE7ProtoLLLi0ELi2ELi0ELb0EEEviiP15ncclDevWorkColl
	.type	_ZN12_GLOBAL__N_17runRingIa7FuncSumIaE7ProtoLLLi0ELi2ELi0ELb0EEEviiP15ncclDevWorkColl,@function
_ZN12_GLOBAL__N_17runRingIa7FuncSumIaE7ProtoLLLi0ELi2ELi0ELb0EEEviiP15ncclDevWorkColl: ; @_ZN12_GLOBAL__N_17runRingIa7FuncSumIaE7ProtoLLLi0ELi2ELi0ELb0EEEviiP15ncclDevWorkColl
; %bb.0:
	s_waitcnt vmcnt(0) expcnt(0) lgkmcnt(0)
	s_or_saveexec_b64 s[4:5], -1
	buffer_store_dword v63, off, s[0:3], s32 offset:84 ; 4-byte Folded Spill
	s_mov_b64 exec, s[4:5]
	buffer_store_dword v40, off, s[0:3], s32 offset:80 ; 4-byte Folded Spill
	buffer_store_dword v41, off, s[0:3], s32 offset:76 ; 4-byte Folded Spill
	;; [unrolled: 1-line block ×20, first 2 shown]
	buffer_store_dword a37, off, s[0:3], s32 ; 4-byte Folded Spill
	v_writelane_b32 v63, s34, 0
	v_writelane_b32 v63, s35, 1
	;; [unrolled: 1-line block ×25, first 2 shown]
	v_mov_b32_e32 v11, v31
	s_trap 2
	flat_load_dword v7, v[2:3]
	flat_load_dwordx4 v[28:31], v[2:3] offset:72
	flat_load_dwordx2 v[12:13], v[2:3] offset:88
	ds_read_b32 v5, v0
	ds_read_b64 v[22:23], v0
	v_mov_b32_e32 v26, v0
	v_mov_b32_e32 v20, v1
                                        ; implicit-def: $agpr4_agpr5
	s_waitcnt lgkmcnt(0)
	v_readfirstlane_b32 s52, v5
	s_waitcnt vmcnt(0)
	v_not_b32_sdwa v6, v7 dst_sel:DWORD dst_unused:UNUSED_PAD src0_sel:BYTE_0
	v_add_u32_sdwa v0, v7, v6 dst_sel:DWORD dst_unused:UNUSED_PAD src0_sel:BYTE_1 src1_sel:DWORD
	v_ashrrev_i32_e32 v1, 31, v0
	v_mul_lo_u32 v4, v31, v0
	v_mad_u64_u32 v[14:15], s[4:5], v30, v0, 0
	v_mul_lo_u32 v0, v30, v1
	v_add3_u32 v4, v15, v0, v4
	v_cmp_ne_u32_sdwa s[4:5], v7, v5 src0_sel:BYTE_0 src1_sel:DWORD
                                        ; implicit-def: $vgpr0_vgpr1
	s_and_saveexec_b64 s[6:7], s[4:5]
	s_xor_b64 s[4:5], exec, s[6:7]
	s_cbranch_execz .LBB8_6
; %bb.1:
	v_cmp_ne_u32_sdwa s[6:7], v7, v5 src0_sel:BYTE_1 src1_sel:DWORD
                                        ; implicit-def: $vgpr0_vgpr1
                                        ; implicit-def: $agpr4_agpr5
	s_and_saveexec_b64 s[10:11], s[6:7]
	s_xor_b64 s[6:7], exec, s[10:11]
	s_cbranch_execz .LBB8_3
; %bb.2:
	flat_load_dwordx2 v[0:1], v[2:3] offset:96
	v_add_u32_e32 v5, v5, v6
	v_ashrrev_i32_e32 v6, 31, v5
	v_mul_lo_u32 v6, v30, v6
	v_mul_lo_u32 v7, v31, v5
	v_mad_u64_u32 v[8:9], s[10:11], v30, v5, v[28:29]
	v_add3_u32 v9, v7, v9, v6
	v_accvgpr_write_b32 a4, v8
	v_accvgpr_write_b32 a5, v9
	s_waitcnt vmcnt(0) lgkmcnt(0)
	v_lshrrev_b64 v[0:1], 21, v[0:1]
.LBB8_3:
	s_andn2_saveexec_b64 s[6:7], s[6:7]
	s_cbranch_execz .LBB8_5
; %bb.4:
	flat_load_dword v0, v[2:3] offset:100
	v_add_co_u32_e32 v6, vcc, v14, v28
	v_addc_co_u32_e32 v7, vcc, v4, v29, vcc
	v_accvgpr_write_b32 a4, v6
	v_accvgpr_write_b32 a5, v7
	v_pk_mov_b32 v[30:31], v[12:13], v[12:13] op_sel:[0,1]
	s_waitcnt vmcnt(0) lgkmcnt(0)
	v_lshrrev_b32_e32 v0, 10, v0
.LBB8_5:
	s_or_b64 exec, exec, s[6:7]
.LBB8_6:
	s_andn2_saveexec_b64 s[4:5], s[4:5]
	s_cbranch_execz .LBB8_8
; %bb.7:
	flat_load_dwordx2 v[0:1], v[2:3] offset:96
	v_pk_mov_b32 v[6:7], 0, 0
	v_accvgpr_write_b32 a4, v6
	v_accvgpr_write_b32 a5, v7
	v_pk_mov_b32 v[30:31], v[28:29], v[28:29] op_sel:[0,1]
.LBB8_8:
	s_or_b64 exec, exec, s[4:5]
	flat_load_dwordx4 v[42:45], v[2:3] offset:16
	s_waitcnt vmcnt(0) lgkmcnt(0)
	v_add_co_u32_e32 v1, vcc, v12, v28
	v_addc_co_u32_e32 v5, vcc, v13, v29, vcc
	v_add_co_u32_e32 v62, vcc, v1, v14
	v_addc_co_u32_e32 v1, vcc, v5, v4, vcc
	v_accvgpr_write_b32 a1, v1
	v_cmp_ge_i32_e32 vcc, v26, v20
	s_and_saveexec_b64 s[4:5], vcc
	s_xor_b64 s[4:5], exec, s[4:5]
	s_cbranch_execz .LBB8_41
; %bb.9:
	flat_load_dword v0, v[22:23]
	v_accvgpr_read_b32 v1, a1
	s_waitcnt vmcnt(0) lgkmcnt(0)
	v_ashrrev_i32_e32 v2, 31, v0
	v_mul_lo_u32 v1, v1, v0
	v_mul_lo_u32 v2, v62, v2
	v_mad_u64_u32 v[4:5], s[6:7], v62, v0, v[42:43]
	v_add3_u32 v5, v1, v5, v2
	v_cmp_ne_u64_e32 vcc, v[44:45], v[4:5]
	s_and_saveexec_b64 s[6:7], vcc
	s_cbranch_execz .LBB8_40
; %bb.10:
	v_mad_u64_u32 v[4:5], s[10:11], v62, v0, 0
	v_add3_u32 v0, v5, v2, v1
	v_accvgpr_read_b32 v2, a4
	v_accvgpr_read_b32 v3, a5
	v_add_co_u32_e32 v14, vcc, v44, v2
	v_addc_co_u32_e32 v15, vcc, v45, v3, vcc
	v_add_co_u32_e32 v1, vcc, v42, v2
	v_addc_co_u32_e32 v2, vcc, v43, v3, vcc
	v_add_co_u32_e32 v16, vcc, v1, v4
	v_sub_u32_e32 v1, v26, v20
	v_addc_co_u32_e32 v17, vcc, v2, v0, vcc
	v_ashrrev_i32_e32 v0, 31, v1
	v_lshrrev_b32_e32 v0, 26, v0
	v_add_u32_e32 v0, v1, v0
	v_and_b32_e32 v2, 0xffffffc0, v0
	v_sub_u32_e32 v18, v1, v2
	v_cmp_gt_i32_e32 vcc, 1, v18
	v_mov_b32_e32 v1, 0
	s_and_saveexec_b64 s[10:11], vcc
; %bb.11:
	v_or_b32_e32 v1, v14, v16
	v_and_b32_e32 v1, 15, v1
	v_cmp_ne_u32_e32 vcc, 0, v1
	v_cndmask_b32_e64 v1, 0, 1, vcc
; %bb.12:
	s_or_b64 exec, exec, s[10:11]
	v_ashrrev_i32_e32 v19, 6, v0
	;;#ASMSTART
	;;#ASMEND
	v_cmp_ne_u32_e32 vcc, 0, v1
	s_cbranch_vccz .LBB8_14
; %bb.13:
	s_mov_b64 s[18:19], -1
	s_mov_b64 s[14:15], 0
	v_pk_mov_b32 v[4:5], 0, 0
	s_mov_b64 s[10:11], 0
                                        ; implicit-def: $vgpr2_vgpr3
                                        ; implicit-def: $vgpr0_vgpr1
	v_mov_b32_e32 v11, v18
	v_mov_b32_e32 v13, v19
	s_and_saveexec_b64 s[16:17], s[18:19]
	s_cbranch_execnz .LBB8_25
	s_branch .LBB8_34
.LBB8_14:
	v_ashrrev_i32_e32 v0, 31, v31
	v_lshrrev_b32_e32 v0, 21, v0
	v_add_co_u32_e32 v0, vcc, v30, v0
	v_addc_co_u32_e32 v1, vcc, 0, v31, vcc
	v_ashrrev_i64 v[6:7], 11, v[0:1]
	v_ashrrev_i32_e32 v0, 31, v19
	v_sub_co_u32_e32 v10, vcc, v6, v19
	v_subb_co_u32_e32 v11, vcc, v7, v0, vcc
	v_cmp_gt_i64_e32 vcc, 1, v[10:11]
	s_mov_b64 s[18:19], 0
	s_mov_b64 s[10:11], -1
	v_pk_mov_b32 v[4:5], 0, 0
	s_mov_b64 s[14:15], 0
                                        ; implicit-def: $vgpr2_vgpr3
                                        ; implicit-def: $vgpr0_vgpr1
                                        ; implicit-def: $vgpr11
                                        ; implicit-def: $vgpr13
	s_and_saveexec_b64 s[16:17], vcc
	s_cbranch_execz .LBB8_24
; %bb.15:
	v_lshlrev_b64 v[0:1], 11, v[6:7]
	v_cmp_ne_u64_e32 vcc, v[30:31], v[0:1]
	v_pk_mov_b32 v[4:5], 0, 0
                                        ; implicit-def: $vgpr2_vgpr3
                                        ; implicit-def: $vgpr11
                                        ; implicit-def: $vgpr13
	s_and_saveexec_b64 s[10:11], vcc
	s_cbranch_execz .LBB8_23
; %bb.16:
	v_sub_co_u32_e32 v4, vcc, v30, v0
	v_subb_co_u32_e32 v5, vcc, v31, v1, vcc
	v_ashrrev_i32_e32 v2, 31, v5
	v_lshrrev_b32_e32 v2, 22, v2
	v_add_co_u32_e32 v6, vcc, v4, v2
	v_addc_co_u32_e32 v7, vcc, 0, v5, vcc
	v_and_b32_e32 v2, 0xfffffc00, v6
	v_add_co_u32_e32 v8, vcc, v2, v0
	v_addc_co_u32_e32 v9, vcc, v7, v1, vcc
	v_ashrrev_i64 v[12:13], 10, v[6:7]
	v_sub_co_u32_e32 v6, vcc, v4, v2
	v_subb_co_u32_e32 v7, vcc, v5, v7, vcc
	v_mov_b32_e32 v3, 0
	v_cmp_lt_i64_e32 vcc, 15, v[6:7]
	s_and_saveexec_b64 s[14:15], vcc
; %bb.17:
	v_add_co_u32_e32 v12, vcc, 1, v12
	v_and_b32_e32 v2, 15, v30
	v_sub_co_u32_e32 v6, vcc, v6, v2
	v_subbrev_co_u32_e32 v7, vcc, 0, v7, vcc
	v_add_co_u32_e32 v8, vcc, v6, v8
	v_addc_co_u32_e32 v9, vcc, v7, v9, vcc
	v_pk_mov_b32 v[6:7], v[2:3], v[2:3] op_sel:[0,1]
; %bb.18:
	s_or_b64 exec, exec, s[14:15]
	v_lshlrev_b32_e32 v2, 6, v10
	v_sub_u32_e32 v2, v18, v2
	v_ashrrev_i32_e32 v3, 31, v2
	v_lshrrev_b32_e32 v3, 26, v3
	v_add_u32_e32 v3, v2, v3
	v_ashrrev_i32_e32 v10, 6, v3
	v_and_b32_e32 v3, 0xffffffc0, v3
	v_sub_u32_e32 v20, v2, v3
	v_lshlrev_b32_e32 v2, 4, v20
	v_lshl_add_u32 v2, v10, 10, v2
	v_ashrrev_i32_e32 v3, 31, v2
	v_sub_co_u32_e32 v4, vcc, v4, v2
	v_subb_co_u32_e32 v5, vcc, v5, v3, vcc
	v_cmp_gt_i64_e32 vcc, 16, v[4:5]
	s_mov_b64 s[20:21], -1
	v_pk_mov_b32 v[4:5], 0, 0
                                        ; implicit-def: $vgpr30_vgpr31
                                        ; implicit-def: $vgpr11
                                        ; implicit-def: $vgpr13
	s_and_saveexec_b64 s[14:15], vcc
	s_cbranch_execz .LBB8_22
; %bb.19:
	v_cmp_ne_u64_e32 vcc, 0, v[6:7]
	v_pk_mov_b32 v[4:5], 0, 0
                                        ; implicit-def: $vgpr11
                                        ; implicit-def: $vgpr13
	s_and_saveexec_b64 s[20:21], vcc
; %bb.20:
	v_sub_u32_e32 v4, v10, v12
	v_lshl_add_u32 v4, v4, 6, v20
	v_ashrrev_i32_e32 v5, 31, v4
	v_lshrrev_b32_e32 v5, 26, v5
	v_add_u32_e32 v5, v4, v5
	v_and_b32_e32 v10, 0xffffffc0, v5
	s_mov_b64 s[18:19], exec
	v_sub_u32_e32 v11, v4, v10
	v_ashrrev_i32_e32 v13, 6, v5
	v_pk_mov_b32 v[4:5], v[8:9], v[8:9] op_sel:[0,1]
; %bb.21:
	s_or_b64 exec, exec, s[20:21]
	s_xor_b64 s[20:21], exec, -1
	s_and_b64 s[18:19], s[18:19], exec
	v_pk_mov_b32 v[30:31], v[6:7], v[6:7] op_sel:[0,1]
.LBB8_22:
	s_or_b64 exec, exec, s[14:15]
	s_and_b64 s[14:15], s[20:21], exec
	s_and_b64 s[18:19], s[18:19], exec
.LBB8_23:
	s_or_b64 exec, exec, s[10:11]
	s_xor_b64 s[10:11], exec, -1
	s_and_b64 s[14:15], s[14:15], exec
	s_and_b64 s[18:19], s[18:19], exec
.LBB8_24:
	s_or_b64 exec, exec, s[16:17]
	s_and_saveexec_b64 s[16:17], s[18:19]
	s_cbranch_execz .LBB8_34
.LBB8_25:
	v_ashrrev_i32_e32 v6, 31, v31
	v_lshrrev_b32_e32 v6, 22, v6
	v_add_co_u32_e32 v6, vcc, v30, v6
	v_addc_co_u32_e32 v7, vcc, 0, v31, vcc
	v_ashrrev_i64 v[8:9], 10, v[6:7]
	v_ashrrev_i32_e32 v7, 31, v13
	v_sub_co_u32_e32 v6, vcc, v8, v13
	v_subb_co_u32_e32 v7, vcc, v9, v7, vcc
	v_cmp_gt_i64_e32 vcc, 1, v[6:7]
	s_and_saveexec_b64 s[18:19], vcc
	s_xor_b64 s[18:19], exec, s[18:19]
	s_cbranch_execz .LBB8_31
; %bb.26:
	v_lshlrev_b64 v[8:9], 10, v[8:9]
	v_cmp_ne_u64_e32 vcc, v[30:31], v[8:9]
	s_and_saveexec_b64 s[20:21], vcc
	s_cbranch_execz .LBB8_30
; %bb.27:
	v_lshlrev_b32_e32 v6, 6, v6
	v_sub_co_u32_e32 v12, vcc, v30, v8
	v_sub_u32_e32 v6, v11, v6
	v_subb_co_u32_e32 v13, vcc, v31, v9, vcc
	v_ashrrev_i32_e32 v7, 31, v6
	v_cmp_gt_i64_e32 vcc, v[12:13], v[6:7]
	s_and_b64 exec, exec, vcc
	s_cbranch_execz .LBB8_30
; %bb.28:
	v_add_co_u32_e32 v4, vcc, v8, v4
	v_addc_co_u32_e32 v5, vcc, v9, v5, vcc
	v_add_co_u32_e32 v6, vcc, v4, v6
	v_addc_co_u32_e32 v7, vcc, v5, v7, vcc
	;; [unrolled: 2-line block ×3, first 2 shown]
	flat_load_ubyte v8, v[4:5]
	v_add_co_u32_e32 v4, vcc, v6, v16
	v_addc_co_u32_e32 v5, vcc, v7, v17, vcc
	s_and_b64 vcc, exec, -1
	s_waitcnt vmcnt(0) lgkmcnt(0)
	flat_store_byte v[4:5], v8 glc slc
.LBB8_29:                               ; =>This Inner Loop Header: Depth=1
	s_mov_b64 vcc, vcc
	s_cbranch_vccnz .LBB8_29
.LBB8_30:
	s_or_b64 exec, exec, s[20:21]
                                        ; implicit-def: $vgpr13
                                        ; implicit-def: $vgpr11
                                        ; implicit-def: $vgpr4_vgpr5
.LBB8_31:
	s_andn2_saveexec_b64 s[18:19], s[18:19]
	s_cbranch_execz .LBB8_34
; %bb.32:
	v_lshl_add_u32 v6, v13, 10, v11
	v_ashrrev_i32_e32 v7, 31, v6
	v_add_co_u32_e32 v6, vcc, v4, v6
	v_addc_co_u32_e32 v7, vcc, v5, v7, vcc
	v_add_co_u32_e32 v4, vcc, v6, v16
	v_addc_co_u32_e32 v5, vcc, v7, v17, vcc
	;; [unrolled: 2-line block ×3, first 2 shown]
	s_and_b64 vcc, exec, 0
.LBB8_33:                               ; =>This Inner Loop Header: Depth=1
	flat_load_ubyte v8, v[6:7] glc slc
	flat_load_ubyte v9, v[6:7] offset:64 glc slc
	flat_load_ubyte v10, v[6:7] offset:128 glc slc
	;; [unrolled: 1-line block ×15, first 2 shown]
	s_waitcnt vmcnt(0) lgkmcnt(0)
	flat_store_byte v[4:5], v8 glc slc
	flat_store_byte v[4:5], v9 offset:64 glc slc
	flat_store_byte v[4:5], v10 offset:128 glc slc
	flat_store_byte v[4:5], v11 offset:192 glc slc
	flat_store_byte v[4:5], v12 offset:256 glc slc
	flat_store_byte v[4:5], v13 offset:320 glc slc
	flat_store_byte v[4:5], v20 offset:384 glc slc
	flat_store_byte v[4:5], v21 offset:448 glc slc
	flat_store_byte v[4:5], v22 offset:512 glc slc
	flat_store_byte v[4:5], v23 offset:576 glc slc
	flat_store_byte v[4:5], v24 offset:640 glc slc
	flat_store_byte v[4:5], v25 offset:704 glc slc
	flat_store_byte v[4:5], v26 offset:768 glc slc
	flat_store_byte v[4:5], v27 offset:832 glc slc
	flat_store_byte v[4:5], v28 offset:896 glc slc
	flat_store_byte v[4:5], v29 offset:960 glc slc
	s_mov_b64 vcc, vcc
	s_cbranch_vccz .LBB8_33
.LBB8_34:
	s_or_b64 exec, exec, s[16:17]
	s_and_saveexec_b64 s[16:17], s[14:15]
	s_cbranch_execz .LBB8_37
; %bb.35:
	v_add_co_u32_e32 v2, vcc, v0, v2
	v_addc_co_u32_e32 v3, vcc, v1, v3, vcc
	v_add_co_u32_e32 v0, vcc, v2, v16
	v_addc_co_u32_e32 v1, vcc, v3, v17, vcc
	;; [unrolled: 2-line block ×3, first 2 shown]
	s_and_b64 vcc, exec, 0
.LBB8_36:                               ; =>This Inner Loop Header: Depth=1
	global_load_dwordx4 v[4:7], v[2:3], off glc slc
	s_waitcnt vmcnt(0)
	global_store_dwordx4 v[0:1], v[4:7], off glc slc
	s_mov_b64 vcc, vcc
	s_cbranch_vccz .LBB8_36
.LBB8_37:
	s_or_b64 exec, exec, s[16:17]
	s_and_saveexec_b64 s[14:15], s[10:11]
	s_xor_b64 s[14:15], exec, s[14:15]
	s_cbranch_execz .LBB8_40
; %bb.38:
	v_lshlrev_b32_e32 v0, 4, v18
	v_lshl_add_u32 v2, v19, 11, v0
	v_ashrrev_i32_e32 v3, 31, v2
	v_add_co_u32_e32 v0, vcc, v16, v2
	v_addc_co_u32_e32 v1, vcc, v17, v3, vcc
	v_add_co_u32_e32 v2, vcc, v14, v2
	v_addc_co_u32_e32 v3, vcc, v15, v3, vcc
	s_and_b64 vcc, exec, 0
.LBB8_39:                               ; =>This Inner Loop Header: Depth=1
	global_load_dwordx4 v[4:7], v[2:3], off glc slc
	global_load_dwordx4 v[8:11], v[2:3], off offset:1024 glc slc
	s_waitcnt vmcnt(0)
	global_store_dwordx4 v[0:1], v[4:7], off glc slc
	global_store_dwordx4 v[0:1], v[8:11], off offset:1024 glc slc
	s_mov_b64 vcc, vcc
	s_cbranch_vccz .LBB8_39
.LBB8_40:
	s_or_b64 exec, exec, s[6:7]
                                        ; implicit-def: $vgpr30_vgpr31
                                        ; implicit-def: $agpr4_agpr5
                                        ; implicit-def: $vgpr0_vgpr1
                                        ; implicit-def: $vgpr26
                                        ; implicit-def: $vgpr20
                                        ; implicit-def: $vgpr22_vgpr23
                                        ; implicit-def: $vgpr11
                                        ; implicit-def: $vgpr44_vgpr45
                                        ; implicit-def: $vgpr2_vgpr3
                                        ; implicit-def: $vgpr62
                                        ; implicit-def: $agpr1
.LBB8_41:
	s_andn2_saveexec_b64 s[20:21], s[4:5]
	s_cbranch_execz .LBB8_349
; %bb.42:
	flat_load_ushort v5, v[2:3] offset:8
	flat_load_dword v4, v[2:3] offset:4
	s_load_dword s4, s[8:9], 0x0
	v_mov_b32_e32 v13, 0
	v_ashrrev_i32_e32 v27, 31, v26
	v_lshrrev_b32_e32 v1, 26, v27
	v_add_u32_e32 v1, v26, v1
	s_waitcnt lgkmcnt(0)
	s_cmp_lt_u32 s12, s4
	s_cselect_b32 s4, 12, 18
	s_add_u32 s4, s8, s4
	s_addc_u32 s5, s9, 0
	global_load_ushort v14, v13, s[4:5]
	s_trap 2
	ds_read_b32 v12, v0
	v_and_b32_e32 v1, 0xffffffc0, v1
	v_sub_u32_e32 v1, v26, v1
	s_mov_b32 s6, 0
	v_pk_mov_b32 v[8:9], 0, 0
	s_waitcnt lgkmcnt(0)
	v_cmp_gt_i32_e32 vcc, 0, v12
	s_and_b64 vcc, exec, vcc
	v_cmp_eq_u32_e64 s[4:5], 0, v1
	s_waitcnt vmcnt(0)
	v_lshrrev_b64 v[2:3], 31, v[4:5]
	v_and_b32_e32 v4, 3, v2
	s_cbranch_vccnz .LBB8_44
; %bb.43:
	s_trap 2
	ds_read_b64 v[2:3], v0
	v_lshlrev_b64 v[6:7], 3, v[12:13]
	v_and_b32_e32 v5, 0xffff, v4
	s_movk_i32 s6, 0xa8
	s_waitcnt lgkmcnt(0)
	v_add_co_u32_e32 v2, vcc, v2, v6
	v_addc_co_u32_e32 v3, vcc, v3, v7, vcc
	flat_load_dwordx2 v[2:3], v[2:3]
	s_waitcnt vmcnt(0) lgkmcnt(0)
	v_mad_u64_u32 v[2:3], s[6:7], v5, s6, v[2:3]
	flat_load_dwordx2 v[32:33], v[2:3] offset:504
	flat_load_dwordx2 v[34:35], v[2:3] offset:608
	v_add_co_u32_e32 v2, vcc, 0x1f8, v2
	v_addc_co_u32_e32 v3, vcc, 0, v3, vcc
	v_cndmask_b32_e64 v19, 0, v3, s[4:5]
	v_cndmask_b32_e64 v18, 0, v2, s[4:5]
	s_mov_b32 s6, 1
	s_branch .LBB8_45
.LBB8_44:
	v_pk_mov_b32 v[18:19], v[8:9], v[8:9] op_sel:[0,1]
                                        ; implicit-def: $vgpr34_vgpr35
                                        ; implicit-def: $vgpr32_vgpr33
.LBB8_45:
	s_trap 2
	ds_read_b32 v2, v0
	s_waitcnt lgkmcnt(0)
	v_cmp_gt_i32_e32 vcc, 0, v2
	s_cbranch_vccnz .LBB8_47
; %bb.46:
	s_trap 2
	ds_read_b64 v[6:7], v0
	v_mov_b32_e32 v3, 0
	v_lshlrev_b64 v[2:3], 3, v[2:3]
	v_and_b32_e32 v4, 0xffff, v4
	s_movk_i32 s4, 0xa8
	s_waitcnt lgkmcnt(0)
	v_add_co_u32_e32 v2, vcc, v6, v2
	v_addc_co_u32_e32 v3, vcc, v7, v3, vcc
	flat_load_dwordx2 v[2:3], v[2:3]
	v_cmp_eq_u32_e32 vcc, 0, v1
	s_waitcnt vmcnt(0) lgkmcnt(0)
	v_mad_u64_u32 v[2:3], s[4:5], v4, s4, v[2:3]
	flat_load_dwordx2 v[36:37], v[2:3]
	flat_load_dwordx2 v[16:17], v[2:3] offset:104
	v_cndmask_b32_e32 v9, 0, v3, vcc
	v_cndmask_b32_e32 v8, 0, v2, vcc
	s_branch .LBB8_48
.LBB8_47:
                                        ; implicit-def: $vgpr16_vgpr17
                                        ; implicit-def: $vgpr36_vgpr37
.LBB8_48:
	v_subrev_u32_e32 v2, 64, v20
	v_cmp_le_i32_e32 vcc, v2, v26
	v_pk_mov_b32 v[2:3], 0, 0
	v_cmp_gt_i32_e64 s[4:5], s6, v1
	v_accvgpr_write_b32 a17, v3
	s_and_b64 s[22:23], vcc, s[4:5]
	v_accvgpr_write_b32 a16, v2
                                        ; implicit-def: $vgpr38_vgpr39
	s_and_saveexec_b64 s[4:5], s[22:23]
	s_cbranch_execz .LBB8_50
; %bb.49:
	flat_load_dwordx2 a[16:17], v[18:19] offset:56
	flat_load_dwordx2 v[38:39], v[18:19] offset:104
.LBB8_50:
	s_or_b64 exec, exec, s[4:5]
	v_cmp_gt_i32_e64 s[4:5], s6, v26
	v_pk_mov_b32 v[50:51], v[2:3], v[2:3] op_sel:[0,1]
                                        ; implicit-def: $vgpr54_vgpr55
	s_and_saveexec_b64 s[6:7], s[4:5]
	s_cbranch_execz .LBB8_52
; %bb.51:
	flat_load_dwordx2 v[50:51], v[8:9] offset:56
	s_waitcnt vmcnt(0) lgkmcnt(0)
	flat_load_dwordx2 v[54:55], v[50:51] glc
	s_waitcnt vmcnt(0)
	flat_load_dwordx4 v[2:5], v[8:9] offset:96
.LBB8_52:
	s_or_b64 exec, exec, s[6:7]
	v_cmp_ne_u64_e32 vcc, 0, v[30:31]
	v_pk_mov_b32 v[52:53], 0, 0
	s_and_saveexec_b64 s[24:25], vcc
	s_cbranch_execz .LBB8_325
; %bb.53:
	v_ashrrev_i32_e32 v1, 31, v12
	v_lshrrev_b32_e32 v1, 29, v1
	v_add_u32_e32 v1, v12, v1
	v_accvgpr_write_b32 a13, v9
	v_ashrrev_i32_e32 v10, 7, v1
	v_lshlrev_b32_e32 v1, 4, v0
	v_accvgpr_write_b32 a12, v8
	v_and_b32_e32 v8, 0x1fffff0, v1
	v_cvt_f64_u32_e32 v[6:7], 0
	v_ldexp_f64 v[6:7], v[6:7], 32
	v_accvgpr_write_b32 a18, v8
	v_cvt_f64_u32_e32 v[8:9], v8
	v_and_b32_e32 v1, 63, v11
	v_ashrrev_i32_e32 v21, 31, v20
	v_add_f64 v[6:7], v[6:7], v[8:9]
	v_cmp_eq_u32_e64 s[12:13], 0, v1
	v_lshrrev_b32_e32 v1, 26, v21
	v_accvgpr_write_b32 a21, v7
	v_add_u32_e32 v1, v20, v1
	v_accvgpr_write_b32 a20, v6
	v_ashrrev_i32_e32 v6, 6, v1
	v_ashrrev_i32_e32 v1, 31, v6
	v_lshlrev_b32_e32 v46, 3, v26
	v_accvgpr_write_b32 a22, v6
	v_accvgpr_write_b32 a11, v1
	v_ashrrev_i32_e32 v1, 31, v46
	v_add_co_u32_e32 v6, vcc, v42, v46
	v_accvgpr_write_b32 a23, v6
	v_addc_co_u32_e32 v6, vcc, v43, v1, vcc
	v_accvgpr_write_b32 a25, v6
	s_waitcnt vmcnt(0) lgkmcnt(0)
	v_accvgpr_read_b32 v6, a16
	v_accvgpr_read_b32 v7, a17
	v_cmp_ne_u64_e64 s[14:15], 0, v[6:7]
	v_add_co_u32_e32 v47, vcc, v44, v46
	v_accvgpr_read_b32 v7, a5
	v_accvgpr_write_b32 a19, v1
	v_addc_co_u32_e32 v1, vcc, v45, v1, vcc
	v_accvgpr_read_b32 v6, a4
	v_and_b32_e32 v0, 0x1fffff, v0
	v_add_co_u32_e32 v58, vcc, v47, v6
	v_lshlrev_b32_e32 v0, 7, v0
	v_accvgpr_write_b32 a27, v1
	v_addc_co_u32_e32 v59, vcc, v1, v7, vcc
	v_lshlrev_b32_e32 v1, 3, v58
	v_accvgpr_write_b32 a29, v0
	v_lshlrev_b32_e32 v0, 6, v20
	v_accvgpr_write_b32 a28, v1
	v_accvgpr_write_b32 a30, v0
	v_lshlrev_b64 v[0:1], 4, v[26:27]
	v_add_co_u32_e32 v0, vcc, v36, v0
	v_accvgpr_write_b32 a14, v18
	v_lshlrev_b32_e32 v56, 3, v20
	s_cmp_lt_i32 s52, 3
	v_accvgpr_write_b32 a6, v42
	v_accvgpr_write_b32 a31, v0
	v_addc_co_u32_e32 v0, vcc, v37, v1, vcc
	v_pk_mov_b32 v[28:29], 0, 0
	v_accvgpr_mov_b32 a35, a5
	v_accvgpr_write_b32 a15, v19
	v_mov_b32_e32 v41, 0
	s_mov_b64 s[26:27], 0
	v_cmp_ne_u64_e64 s[6:7], 0, v[50:51]
	v_cmp_ne_u64_e64 s[8:9], 0, v[2:3]
	v_cmp_ne_u32_e64 s[10:11], 64, v20
	v_accvgpr_write_b32 a10, v14
	v_cmp_ne_u32_sdwa s[28:29], v14, v20 src0_sel:WORD_0 src1_sel:DWORD
	v_accvgpr_write_b32 a0, v11
	v_ashrrev_i32_e32 v57, 31, v56
	s_cselect_b64 s[30:31], -1, 0
	s_add_i32 s53, s52, -2
	v_accvgpr_write_b32 a7, v43
	v_accvgpr_write_b32 a8, v44
	;; [unrolled: 1-line block ×4, first 2 shown]
	v_lshlrev_b64 v[60:61], 4, v[20:21]
	s_movk_i32 s54, 0x2710
	s_mov_b64 s[34:35], 0x7ffffff8
	v_accvgpr_mov_b32 a34, a4
	v_mov_b32_e32 v27, 0
	v_pk_mov_b32 v[52:53], v[28:29], v[28:29] op_sel:[0,1]
	s_branch .LBB8_55
.LBB8_54:                               ;   in Loop: Header=BB8_55 Depth=1
	s_or_b64 exec, exec, s[16:17]
	v_add_co_u32_e32 v34, vcc, 1, v34
	v_addc_co_u32_e32 v35, vcc, 0, v35, vcc
	v_accvgpr_read_b32 v0, a18
	v_add_co_u32_e32 v28, vcc, v28, v0
	v_addc_co_u32_e32 v29, vcc, 0, v29, vcc
	v_accvgpr_read_b32 v6, a34
	v_accvgpr_read_b32 v7, a35
	v_add_co_u32_e32 v6, vcc, v6, v0
	v_addc_co_u32_e32 v7, vcc, 0, v7, vcc
	v_accvgpr_read_b32 v31, a3
	v_accvgpr_write_b32 a35, v7
	v_accvgpr_read_b32 v30, a2
	v_accvgpr_write_b32 a34, v6
	v_accvgpr_read_b32 v1, a28
	v_accvgpr_read_b32 v6, a29
	v_cmp_ge_u64_e32 vcc, v[28:29], v[30:31]
	v_add_u32_e32 v1, v1, v6
	s_or_b64 s[26:27], vcc, s[26:27]
	v_add_co_u32_e32 v58, vcc, v58, v0
	v_accvgpr_write_b32 a28, v1
	v_addc_co_u32_e32 v59, vcc, 0, v59, vcc
	s_andn2_b64 exec, exec, s[26:27]
	s_cbranch_execz .LBB8_324
.LBB8_55:                               ; =>This Loop Header: Depth=1
                                        ;     Child Loop BB8_63 Depth 2
                                        ;     Child Loop BB8_80 Depth 2
	;; [unrolled: 1-line block ×9, first 2 shown]
                                        ;       Child Loop BB8_190 Depth 3
                                        ;       Child Loop BB8_206 Depth 3
	;; [unrolled: 1-line block ×3, first 2 shown]
                                        ;         Child Loop BB8_223 Depth 4
                                        ;       Child Loop BB8_257 Depth 3
                                        ;       Child Loop BB8_181 Depth 3
                                        ;     Child Loop BB8_274 Depth 2
                                        ;       Child Loop BB8_278 Depth 3
                                        ;     Child Loop BB8_312 Depth 2
	flat_load_dword v6, v[22:23]
	v_sub_co_u32_e32 v7, vcc, v30, v28
	v_accvgpr_read_b32 v13, a5
	v_subb_co_u32_e32 v8, vcc, v31, v29, vcc
	v_accvgpr_read_b32 v12, a4
	v_accvgpr_read_b32 v0, a20
	v_add_co_u32_e32 v18, vcc, v28, v12
	v_cvt_f64_u32_e32 v[8:9], v8
	v_accvgpr_read_b32 v1, a21
	v_addc_co_u32_e32 v19, vcc, v29, v13, vcc
	v_cvt_f64_u32_e32 v[12:13], v7
	v_ldexp_f64 v[8:9], v[8:9], 32
	v_max_f64 v[0:1], v[0:1], v[0:1]
	v_add_f64 v[8:9], v[8:9], v[12:13]
	v_min_f64 v[0:1], v[0:1], v[8:9]
	v_cvt_i32_f64_e32 v0, v[0:1]
	v_max_i32_e32 v24, 0, v0
	v_add_u32_e32 v0, 7, v24
	v_accvgpr_read_b32 v45, a9
	v_ashrrev_i32_e32 v1, 31, v0
	v_accvgpr_read_b32 v44, a8
	v_lshrrev_b32_e32 v1, 29, v1
	v_add_co_u32_e32 v14, vcc, v44, v18
	v_add_u32_e32 v9, v0, v1
	v_accvgpr_read_b32 v0, a1
	v_accvgpr_read_b32 v42, a6
	v_addc_co_u32_e32 v15, vcc, v45, v19, vcc
	v_accvgpr_read_b32 v43, a7
	v_accvgpr_write_b32 a2, v30
	v_accvgpr_write_b32 a37, v19
	;; [unrolled: 1-line block ×4, first 2 shown]
	s_waitcnt vmcnt(0) lgkmcnt(0)
	v_ashrrev_i32_e32 v8, 31, v6
	v_mul_lo_u32 v7, v0, v6
	v_mad_u64_u32 v[0:1], s[16:17], v62, v6, v[18:19]
	v_mul_lo_u32 v8, v62, v8
	v_add3_u32 v1, v7, v1, v8
	v_add_co_u32_e32 v0, vcc, v42, v0
	v_addc_co_u32_e32 v1, vcc, v43, v1, vcc
	v_cmp_ne_u64_e32 vcc, v[14:15], v[0:1]
	v_ashrrev_i32_e32 v0, 3, v9
	v_accvgpr_write_b32 a33, v0
	s_and_saveexec_b64 s[16:17], vcc
	s_xor_b64 s[18:19], exec, s[16:17]
	s_cbranch_execz .LBB8_121
; %bb.56:                               ;   in Loop: Header=BB8_55 Depth=1
	s_and_saveexec_b64 s[16:17], s[6:7]
	s_cbranch_execz .LBB8_72
; %bb.57:                               ;   in Loop: Header=BB8_55 Depth=1
	v_add_co_u32_e32 v0, vcc, 1, v4
	v_addc_co_u32_e32 v1, vcc, 0, v5, vcc
	v_add_co_u32_e32 v12, vcc, 8, v54
	v_addc_co_u32_e32 v13, vcc, 0, v55, vcc
	v_cmp_lt_u64_e32 vcc, v[12:13], v[0:1]
	s_and_saveexec_b64 s[36:37], vcc
	s_cbranch_execz .LBB8_69
; %bb.58:                               ;   in Loop: Header=BB8_55 Depth=1
	s_sleep 1
	flat_load_dwordx2 v[54:55], v[50:51] glc
	v_cmp_eq_u32_e32 vcc, 0, v27
	s_and_saveexec_b64 s[38:39], vcc
	s_cbranch_execz .LBB8_68
; %bb.59:                               ;   in Loop: Header=BB8_55 Depth=1
	v_cndmask_b32_e64 v5, 0, 1, vcc
	s_mov_b64 s[40:41], 0
                                        ; implicit-def: $sgpr42_sgpr43
	s_branch .LBB8_63
.LBB8_60:                               ;   in Loop: Header=BB8_63 Depth=2
	s_or_b64 exec, exec, s[50:51]
	s_orn2_b64 s[48:49], s[48:49], exec
.LBB8_61:                               ;   in Loop: Header=BB8_63 Depth=2
	s_or_b64 exec, exec, s[46:47]
	s_xor_b64 vcc, s[48:49], -1
	s_andn2_b64 s[42:43], s[42:43], exec
	s_and_b64 vcc, vcc, exec
	s_or_b64 s[42:43], s[42:43], vcc
.LBB8_62:                               ;   in Loop: Header=BB8_63 Depth=2
	s_or_b64 exec, exec, s[44:45]
	s_and_b64 vcc, exec, s[42:43]
	s_or_b64 s[40:41], vcc, s[40:41]
	s_andn2_b64 exec, exec, s[40:41]
	s_cbranch_execz .LBB8_67
.LBB8_63:                               ;   Parent Loop BB8_55 Depth=1
                                        ; =>  This Inner Loop Header: Depth=2
	s_waitcnt vmcnt(0) lgkmcnt(0)
	v_add_co_u32_e32 v12, vcc, 8, v54
	v_addc_co_u32_e32 v13, vcc, 0, v55, vcc
	v_cmp_lt_u64_e32 vcc, v[12:13], v[0:1]
	v_mov_b32_e32 v27, 0
	s_or_b64 s[42:43], s[42:43], exec
	s_and_saveexec_b64 s[44:45], vcc
	s_cbranch_execz .LBB8_62
; %bb.64:                               ;   in Loop: Header=BB8_63 Depth=2
	s_sleep 1
	flat_load_dwordx2 v[54:55], v[50:51] glc
	v_add_u32_e32 v5, 1, v5
	v_cmp_eq_u32_e32 vcc, s54, v5
	s_mov_b64 s[48:49], -1
	v_mov_b32_e32 v27, 0
	s_and_saveexec_b64 s[46:47], vcc
	s_cbranch_execz .LBB8_61
; %bb.65:                               ;   in Loop: Header=BB8_63 Depth=2
	s_trap 2
	ds_read_b64 v[12:13], v0
	v_mov_b32_e32 v5, 0
	v_mov_b32_e32 v27, 0
	s_waitcnt vmcnt(0) lgkmcnt(0)
	flat_load_dword v9, v[12:13] glc
	s_waitcnt vmcnt(0) lgkmcnt(0)
	buffer_invl2
	buffer_wbinvl1_vol
	v_cmp_ne_u32_e32 vcc, 0, v9
	s_and_saveexec_b64 s[50:51], vcc
	s_cbranch_execz .LBB8_60
; %bb.66:                               ;   in Loop: Header=BB8_63 Depth=2
	v_mov_b32_e32 v27, 1
	s_xor_b64 s[48:49], exec, -1
	ds_write_b32 v0, v9
	s_trap 2
	s_branch .LBB8_60
.LBB8_67:                               ;   in Loop: Header=BB8_55 Depth=1
	s_or_b64 exec, exec, s[40:41]
.LBB8_68:                               ;   in Loop: Header=BB8_55 Depth=1
	s_or_b64 exec, exec, s[38:39]
.LBB8_69:                               ;   in Loop: Header=BB8_55 Depth=1
	s_or_b64 exec, exec, s[36:37]
	s_and_saveexec_b64 s[36:37], s[8:9]
	s_cbranch_execz .LBB8_71
; %bb.70:                               ;   in Loop: Header=BB8_55 Depth=1
	v_and_b32_e32 v40, 0x7ffffff8, v4
	v_cmp_eq_u64_e32 vcc, s[34:35], v[40:41]
	v_accvgpr_read_b32 v5, a33
	v_cndmask_b32_e32 v5, v5, v10, vcc
	v_lshlrev_b32_e32 v12, 4, v5
	v_and_b32_e32 v4, 7, v4
	v_ashrrev_i32_e32 v13, 31, v12
	v_mad_u64_u32 v[4:5], vcc, v4, 24, v[2:3]
	flat_store_dwordx2 v[4:5], v[12:13] offset:8
	s_waitcnt vmcnt(0)
.LBB8_71:                               ;   in Loop: Header=BB8_55 Depth=1
	s_or_b64 exec, exec, s[36:37]
	v_pk_mov_b32 v[4:5], v[0:1], v[0:1] op_sel:[0,1]
.LBB8_72:                               ;   in Loop: Header=BB8_55 Depth=1
	s_or_b64 exec, exec, s[16:17]
	v_mad_u64_u32 v[12:13], s[16:17], v62, v6, 0
	v_add3_u32 v6, v13, v8, v7
	s_and_saveexec_b64 s[16:17], s[10:11]
	s_cbranch_execz .LBB8_91
; %bb.73:                               ;   in Loop: Header=BB8_55 Depth=1
	s_and_saveexec_b64 vcc, s[28:29]
	s_xor_b64 s[36:37], exec, vcc
	s_cbranch_execz .LBB8_88
; %bb.74:                               ;   in Loop: Header=BB8_55 Depth=1
	s_and_saveexec_b64 s[38:39], s[12:13]
	s_cbranch_execz .LBB8_87
; %bb.75:                               ;   in Loop: Header=BB8_55 Depth=1
	s_mov_b64 s[42:43], exec
	v_mbcnt_lo_u32_b32 v0, s42, 0
	v_mbcnt_hi_u32_b32 v0, s43, v0
	v_cmp_eq_u32_e32 vcc, 0, v0
	s_waitcnt vmcnt(0) lgkmcnt(0)
	buffer_wbinvl1_vol
	s_and_saveexec_b64 s[40:41], vcc
	s_cbranch_execz .LBB8_77
; %bb.76:                               ;   in Loop: Header=BB8_55 Depth=1
	s_bcnt1_i32_b64 vcc_lo, s[42:43]
	v_mov_b32_e32 v40, vcc_lo
	ds_add_u64 v0, v[40:41]
	s_trap 2
.LBB8_77:                               ;   in Loop: Header=BB8_55 Depth=1
	s_or_b64 exec, exec, s[40:41]
	s_trap 2
	ds_read_b64 v[0:1], v0
	v_accvgpr_read_b32 v8, a22
	v_add_co_u32_e32 v52, vcc, v52, v8
	v_accvgpr_read_b32 v7, a11
	v_addc_co_u32_e32 v53, vcc, v53, v7, vcc
	s_waitcnt lgkmcnt(0)
	v_cmp_lt_u64_e32 vcc, v[0:1], v[52:53]
	s_and_saveexec_b64 s[40:41], vcc
	s_cbranch_execz .LBB8_86
; %bb.78:                               ;   in Loop: Header=BB8_55 Depth=1
	s_mov_b32 s55, 0
	s_mov_b64 s[42:43], 0
                                        ; implicit-def: $sgpr44_sgpr45
                                        ; implicit-def: $sgpr46_sgpr47
	s_branch .LBB8_80
.LBB8_79:                               ;   in Loop: Header=BB8_80 Depth=2
	s_or_b64 exec, exec, s[50:51]
	s_and_b64 vcc, exec, vcc
	s_or_b64 s[42:43], vcc, s[42:43]
	s_andn2_b64 vcc, s[44:45], exec
	s_and_b64 s[44:45], s[46:47], exec
	s_or_b64 s[44:45], vcc, s[44:45]
	s_andn2_b64 exec, exec, s[42:43]
	s_cbranch_execz .LBB8_84
.LBB8_80:                               ;   Parent Loop BB8_55 Depth=1
                                        ; =>  This Inner Loop Header: Depth=2
	s_add_i32 s55, s55, 1
	s_cmpk_lg_i32 s55, 0x2710
	s_cselect_b64 s[48:49], -1, 0
	s_and_b64 vcc, exec, s[48:49]
                                        ; implicit-def: $sgpr50_sgpr51
	s_cbranch_vccnz .LBB8_82
; %bb.81:                               ;   in Loop: Header=BB8_80 Depth=2
	s_trap 2
	ds_read_b64 v[0:1], v0
	s_andn2_b64 s[48:49], s[48:49], exec
	s_mov_b32 s55, 0
	s_mov_b64 s[50:51], -1
	s_waitcnt lgkmcnt(0)
	flat_load_dword v0, v[0:1] glc
	s_waitcnt vmcnt(0) lgkmcnt(0)
	buffer_invl2
	buffer_wbinvl1_vol
	v_cmp_eq_u32_e32 vcc, 0, v0
	s_and_b64 vcc, vcc, exec
	s_or_b64 s[48:49], s[48:49], vcc
.LBB8_82:                               ;   in Loop: Header=BB8_80 Depth=2
	s_andn2_b64 s[46:47], s[46:47], exec
	s_and_b64 s[50:51], s[50:51], exec
	s_mov_b64 vcc, -1
	s_or_b64 s[46:47], s[46:47], s[50:51]
	s_and_saveexec_b64 s[50:51], s[48:49]
	s_cbranch_execz .LBB8_79
; %bb.83:                               ;   in Loop: Header=BB8_80 Depth=2
	s_sleep 1
	s_trap 2
	ds_read_b64 v[0:1], v0
	s_andn2_b64 s[46:47], s[46:47], exec
	s_waitcnt lgkmcnt(0)
	v_cmp_ge_u64_e32 vcc, v[0:1], v[52:53]
	s_orn2_b64 vcc, vcc, exec
	s_branch .LBB8_79
.LBB8_84:                               ;   in Loop: Header=BB8_55 Depth=1
	s_or_b64 exec, exec, s[42:43]
	s_and_saveexec_b64 vcc, s[44:45]
	s_xor_b64 vcc, exec, vcc
	s_cbranch_execz .LBB8_86
; %bb.85:                               ;   in Loop: Header=BB8_55 Depth=1
	v_mov_b32_e32 v0, 1
	ds_write_b32 v0, v0
	s_trap 2
.LBB8_86:                               ;   in Loop: Header=BB8_55 Depth=1
	s_or_b64 exec, exec, s[40:41]
	;;#ASMSTART
	s_wakeup
	;;#ASMEND
.LBB8_87:                               ;   in Loop: Header=BB8_55 Depth=1
	s_or_b64 exec, exec, s[38:39]
.LBB8_88:                               ;   in Loop: Header=BB8_55 Depth=1
	s_andn2_saveexec_b64 vcc, s[36:37]
	s_cbranch_execz .LBB8_90
; %bb.89:                               ;   in Loop: Header=BB8_55 Depth=1
	s_waitcnt vmcnt(0) lgkmcnt(0)
	buffer_wbinvl1_vol
	s_barrier
.LBB8_90:                               ;   in Loop: Header=BB8_55 Depth=1
	s_or_b64 exec, exec, vcc
.LBB8_91:                               ;   in Loop: Header=BB8_55 Depth=1
	s_or_b64 exec, exec, s[16:17]
	v_sub_u32_e32 v1, v24, v46
	v_cmp_lt_i32_e32 vcc, 0, v1
	v_mov_b32_e32 v0, v26
	s_and_saveexec_b64 s[36:37], vcc
	s_cbranch_execz .LBB8_117
; %bb.92:                               ;   in Loop: Header=BB8_55 Depth=1
	v_and_b32_e32 v0, 7, v16
	v_mov_b32_e32 v7, v16
	v_add_co_u32_e64 v8, vcc, 0, 0
	v_mul_lo_u32 v14, v0, v10
	v_addc_co_u32_e32 v13, vcc, 1, v7, vcc
	v_accvgpr_read_b32 v0, a23
	v_ashrrev_i32_e32 v15, 31, v14
	v_add_co_u32_e32 v9, vcc, v0, v12
	v_accvgpr_read_b32 v0, a25
	v_addc_co_u32_e32 v11, vcc, v0, v6, vcc
	v_lshlrev_b64 v[6:7], 4, v[14:15]
	v_accvgpr_read_b32 v0, a31
	v_add_co_u32_e32 v18, vcc, v0, v6
	v_accvgpr_read_b32 v0, a32
	v_accvgpr_read_b32 v30, a34
	v_addc_co_u32_e32 v19, vcc, v0, v7, vcc
	s_mov_b64 s[38:39], 0
	v_accvgpr_read_b32 v21, a28
	v_accvgpr_read_b32 v31, a35
	v_mov_b32_e32 v0, v26
	s_branch .LBB8_94
.LBB8_93:                               ;   in Loop: Header=BB8_94 Depth=2
	v_add_co_u32_e32 v30, vcc, v30, v56
	v_sub_u32_e32 v1, v1, v56
	v_addc_co_u32_e32 v31, vcc, v31, v57, vcc
	v_cmp_gt_i32_e32 vcc, 1, v1
	v_accvgpr_read_b32 v6, a30
	s_or_b64 s[38:39], vcc, s[38:39]
	v_add_co_u32_e32 v18, vcc, v18, v60
	v_add_u32_e32 v0, v0, v20
	v_add_u32_e32 v21, v21, v6
	v_addc_co_u32_e32 v19, vcc, v19, v61, vcc
	s_andn2_b64 exec, exec, s[38:39]
	s_cbranch_execz .LBB8_116
.LBB8_94:                               ;   Parent Loop BB8_55 Depth=1
                                        ; =>  This Inner Loop Header: Depth=2
	v_add_co_u32_e32 v14, vcc, v47, v30
	v_accvgpr_read_b32 v6, a27
	v_addc_co_u32_e32 v7, vcc, v6, v31, vcc
	v_and_b32_e32 v6, -4, v14
	global_load_dword v12, v[6:7], off glc slc
	v_min_u32_e32 v15, 8, v1
	v_and_b32_e32 v14, 3, v14
	v_add_co_u32_e32 v14, vcc, v14, v15
	v_addc_co_u32_e64 v15, s[16:17], 0, 0, vcc
	v_mov_b32_e32 v48, 0
	v_cmp_lt_u64_e32 vcc, 4, v[14:15]
	v_mov_b32_e32 v49, 0
	s_and_saveexec_b64 s[16:17], vcc
	s_cbranch_execz .LBB8_96
; %bb.95:                               ;   in Loop: Header=BB8_94 Depth=2
	global_load_dword v49, v[6:7], off offset:4 glc slc
.LBB8_96:                               ;   in Loop: Header=BB8_94 Depth=2
	s_or_b64 exec, exec, s[16:17]
	v_cmp_lt_u64_e32 vcc, 8, v[14:15]
	s_and_saveexec_b64 s[16:17], vcc
	s_cbranch_execz .LBB8_98
; %bb.97:                               ;   in Loop: Header=BB8_94 Depth=2
	global_load_dword v48, v[6:7], off offset:8 glc slc
.LBB8_98:                               ;   in Loop: Header=BB8_94 Depth=2
	s_or_b64 exec, exec, s[16:17]
	v_add_co_u32_e32 v6, vcc, v9, v30
	v_addc_co_u32_e32 v7, vcc, v11, v31, vcc
	s_waitcnt vmcnt(0)
	v_alignbit_b32 v44, v49, v12, v21
	v_alignbit_b32 v45, v48, v49, v21
	v_or_b32_e32 v12, v8, v44
	v_or_b32_e32 v14, v8, v45
	v_mov_b32_e32 v15, v13
	v_cmp_lt_u32_e32 vcc, 7, v1
	global_store_dwordx4 v[18:19], v[12:15], off
	s_nop 0
	v_cndmask_b32_e64 v12, 0, 1, vcc
	;;#ASMSTART
	;;#ASMEND
	v_cmp_ne_u32_e64 s[16:17], 0, v12
	s_cmp_lg_u64 s[16:17], exec
	s_mov_b64 s[16:17], -1
	s_cbranch_scc0 .LBB8_108
; %bb.99:                               ;   in Loop: Header=BB8_94 Depth=2
	v_cmp_ne_u32_e64 s[16:17], 1, v1
	flat_store_byte v[6:7], v44
	s_and_saveexec_b64 s[40:41], s[16:17]
	s_cbranch_execnz .LBB8_110
; %bb.100:                              ;   in Loop: Header=BB8_94 Depth=2
	s_or_b64 exec, exec, s[40:41]
	v_cmp_lt_u32_e64 s[16:17], 2, v1
	s_and_saveexec_b64 s[40:41], s[16:17]
	s_cbranch_execnz .LBB8_111
.LBB8_101:                              ;   in Loop: Header=BB8_94 Depth=2
	s_or_b64 exec, exec, s[40:41]
	v_cmp_lt_u32_e64 s[16:17], 3, v1
	s_and_saveexec_b64 s[40:41], s[16:17]
	s_cbranch_execnz .LBB8_112
.LBB8_102:                              ;   in Loop: Header=BB8_94 Depth=2
	s_or_b64 exec, exec, s[40:41]
	v_cmp_lt_u32_e64 s[16:17], 4, v1
	s_and_saveexec_b64 s[40:41], s[16:17]
	s_cbranch_execnz .LBB8_113
.LBB8_103:                              ;   in Loop: Header=BB8_94 Depth=2
	s_or_b64 exec, exec, s[40:41]
	v_cmp_lt_u32_e64 s[16:17], 5, v1
	s_and_saveexec_b64 s[40:41], s[16:17]
	s_cbranch_execnz .LBB8_114
.LBB8_104:                              ;   in Loop: Header=BB8_94 Depth=2
	s_or_b64 exec, exec, s[40:41]
	v_cmp_lt_u32_e64 s[16:17], 6, v1
	s_and_saveexec_b64 s[40:41], s[16:17]
	s_cbranch_execnz .LBB8_115
.LBB8_105:                              ;   in Loop: Header=BB8_94 Depth=2
	s_or_b64 exec, exec, s[40:41]
	s_and_saveexec_b64 s[16:17], vcc
	s_cbranch_execz .LBB8_107
.LBB8_106:                              ;   in Loop: Header=BB8_94 Depth=2
	v_lshrrev_b32_e32 v12, 24, v45
	flat_store_byte v[6:7], v12 offset:7
.LBB8_107:                              ;   in Loop: Header=BB8_94 Depth=2
	s_or_b64 exec, exec, s[16:17]
	s_mov_b64 s[16:17], 0
.LBB8_108:                              ;   in Loop: Header=BB8_94 Depth=2
	s_and_b64 vcc, exec, s[16:17]
	s_cbranch_vccz .LBB8_93
; %bb.109:                              ;   in Loop: Header=BB8_94 Depth=2
	global_store_dwordx2 v[6:7], v[44:45], off
	s_branch .LBB8_93
.LBB8_110:                              ;   in Loop: Header=BB8_94 Depth=2
	v_lshrrev_b32_e32 v12, 8, v44
	flat_store_byte v[6:7], v12 offset:1
	s_or_b64 exec, exec, s[40:41]
	v_cmp_lt_u32_e64 s[16:17], 2, v1
	s_and_saveexec_b64 s[40:41], s[16:17]
	s_cbranch_execz .LBB8_101
.LBB8_111:                              ;   in Loop: Header=BB8_94 Depth=2
	flat_store_byte_d16_hi v[6:7], v44 offset:2
	s_or_b64 exec, exec, s[40:41]
	v_cmp_lt_u32_e64 s[16:17], 3, v1
	s_and_saveexec_b64 s[40:41], s[16:17]
	s_cbranch_execz .LBB8_102
.LBB8_112:                              ;   in Loop: Header=BB8_94 Depth=2
	v_lshrrev_b32_e32 v12, 24, v44
	flat_store_byte v[6:7], v12 offset:3
	s_or_b64 exec, exec, s[40:41]
	v_cmp_lt_u32_e64 s[16:17], 4, v1
	s_and_saveexec_b64 s[40:41], s[16:17]
	s_cbranch_execz .LBB8_103
.LBB8_113:                              ;   in Loop: Header=BB8_94 Depth=2
	flat_store_byte v[6:7], v45 offset:4
	s_or_b64 exec, exec, s[40:41]
	v_cmp_lt_u32_e64 s[16:17], 5, v1
	s_and_saveexec_b64 s[40:41], s[16:17]
	s_cbranch_execz .LBB8_104
.LBB8_114:                              ;   in Loop: Header=BB8_94 Depth=2
	v_lshrrev_b32_e32 v12, 8, v45
	flat_store_byte v[6:7], v12 offset:5
	s_or_b64 exec, exec, s[40:41]
	v_cmp_lt_u32_e64 s[16:17], 6, v1
	s_and_saveexec_b64 s[40:41], s[16:17]
	s_cbranch_execz .LBB8_105
.LBB8_115:                              ;   in Loop: Header=BB8_94 Depth=2
	flat_store_byte_d16_hi v[6:7], v45 offset:6
	s_or_b64 exec, exec, s[40:41]
	s_and_saveexec_b64 s[16:17], vcc
	s_cbranch_execnz .LBB8_106
	s_branch .LBB8_107
.LBB8_116:                              ;   in Loop: Header=BB8_55 Depth=1
	s_or_b64 exec, exec, s[38:39]
.LBB8_117:                              ;   in Loop: Header=BB8_55 Depth=1
	s_or_b64 exec, exec, s[36:37]
	v_and_b32_e32 v40, 0x7ffffff8, v16
	v_cmp_eq_u64_e32 vcc, s[34:35], v[40:41]
	v_cmp_gt_i32_e64 s[16:17], v10, v0
	s_and_b64 s[16:17], vcc, s[16:17]
	s_and_saveexec_b64 s[36:37], s[16:17]
	s_cbranch_execz .LBB8_120
; %bb.118:                              ;   in Loop: Header=BB8_55 Depth=1
	v_and_b32_e32 v1, 7, v16
	v_mul_lo_u32 v6, v1, v10
	v_mov_b32_e32 v1, v16
	v_add_co_u32_e64 v12, vcc, 0, 0
	v_ashrrev_i32_e32 v7, 31, v6
	v_addc_co_u32_e32 v13, vcc, 1, v1, vcc
	v_ashrrev_i32_e32 v1, 31, v0
	v_lshlrev_b64 v[8:9], 4, v[0:1]
	v_lshlrev_b64 v[6:7], 4, v[6:7]
	v_add_co_u32_e32 v1, vcc, v8, v6
	v_addc_co_u32_e32 v7, vcc, v9, v7, vcc
	v_add_co_u32_e32 v6, vcc, v36, v1
	v_addc_co_u32_e32 v7, vcc, v37, v7, vcc
	s_mov_b64 s[38:39], 0
.LBB8_119:                              ;   Parent Loop BB8_55 Depth=1
                                        ; =>  This Inner Loop Header: Depth=2
	v_mov_b32_e32 v14, v12
	v_mov_b32_e32 v15, v13
	v_add_u32_e32 v0, v0, v20
	global_store_dwordx4 v[6:7], v[12:15], off
	v_cmp_ge_i32_e32 vcc, v0, v10
	v_add_co_u32_e64 v6, s[16:17], v6, v60
	s_or_b64 s[38:39], vcc, s[38:39]
	v_addc_co_u32_e64 v7, vcc, v7, v61, s[16:17]
	s_andn2_b64 exec, exec, s[38:39]
	s_cbranch_execnz .LBB8_119
.LBB8_120:                              ;   in Loop: Header=BB8_55 Depth=1
	s_or_b64 exec, exec, s[36:37]
.LBB8_121:                              ;   in Loop: Header=BB8_55 Depth=1
	s_andn2_saveexec_b64 s[18:19], s[18:19]
	s_cbranch_execz .LBB8_169
; %bb.122:                              ;   in Loop: Header=BB8_55 Depth=1
	s_and_saveexec_b64 s[16:17], s[6:7]
	s_cbranch_execz .LBB8_138
; %bb.123:                              ;   in Loop: Header=BB8_55 Depth=1
	v_add_co_u32_e32 v0, vcc, 1, v4
	v_addc_co_u32_e32 v1, vcc, 0, v5, vcc
	s_waitcnt vmcnt(0) lgkmcnt(0)
	v_add_co_u32_e32 v6, vcc, 8, v54
	v_addc_co_u32_e32 v7, vcc, 0, v55, vcc
	v_cmp_lt_u64_e32 vcc, v[6:7], v[0:1]
	s_and_saveexec_b64 s[36:37], vcc
	s_cbranch_execz .LBB8_135
; %bb.124:                              ;   in Loop: Header=BB8_55 Depth=1
	s_sleep 1
	flat_load_dwordx2 v[54:55], v[50:51] glc
	v_cmp_eq_u32_e32 vcc, 0, v27
	s_and_saveexec_b64 s[38:39], vcc
	s_cbranch_execz .LBB8_134
; %bb.125:                              ;   in Loop: Header=BB8_55 Depth=1
	v_cndmask_b32_e64 v5, 0, 1, vcc
	s_mov_b64 s[40:41], 0
                                        ; implicit-def: $sgpr42_sgpr43
	s_branch .LBB8_129
.LBB8_126:                              ;   in Loop: Header=BB8_129 Depth=2
	s_or_b64 exec, exec, s[50:51]
	s_orn2_b64 s[48:49], s[48:49], exec
.LBB8_127:                              ;   in Loop: Header=BB8_129 Depth=2
	s_or_b64 exec, exec, s[46:47]
	s_xor_b64 vcc, s[48:49], -1
	s_andn2_b64 s[42:43], s[42:43], exec
	s_and_b64 vcc, vcc, exec
	s_or_b64 s[42:43], s[42:43], vcc
.LBB8_128:                              ;   in Loop: Header=BB8_129 Depth=2
	s_or_b64 exec, exec, s[44:45]
	s_and_b64 vcc, exec, s[42:43]
	s_or_b64 s[40:41], vcc, s[40:41]
	s_andn2_b64 exec, exec, s[40:41]
	s_cbranch_execz .LBB8_133
.LBB8_129:                              ;   Parent Loop BB8_55 Depth=1
                                        ; =>  This Inner Loop Header: Depth=2
	s_waitcnt vmcnt(0) lgkmcnt(0)
	v_add_co_u32_e32 v6, vcc, 8, v54
	v_addc_co_u32_e32 v7, vcc, 0, v55, vcc
	v_cmp_lt_u64_e32 vcc, v[6:7], v[0:1]
	v_mov_b32_e32 v27, 0
	s_or_b64 s[42:43], s[42:43], exec
	s_and_saveexec_b64 s[44:45], vcc
	s_cbranch_execz .LBB8_128
; %bb.130:                              ;   in Loop: Header=BB8_129 Depth=2
	s_sleep 1
	flat_load_dwordx2 v[54:55], v[50:51] glc
	v_add_u32_e32 v5, 1, v5
	v_cmp_eq_u32_e32 vcc, s54, v5
	s_mov_b64 s[48:49], -1
	v_mov_b32_e32 v27, 0
	s_and_saveexec_b64 s[46:47], vcc
	s_cbranch_execz .LBB8_127
; %bb.131:                              ;   in Loop: Header=BB8_129 Depth=2
	s_trap 2
	ds_read_b64 v[6:7], v0
	v_mov_b32_e32 v5, 0
	v_mov_b32_e32 v27, 0
	s_waitcnt vmcnt(0) lgkmcnt(0)
	flat_load_dword v6, v[6:7] glc
	s_waitcnt vmcnt(0) lgkmcnt(0)
	buffer_invl2
	buffer_wbinvl1_vol
	v_cmp_ne_u32_e32 vcc, 0, v6
	s_and_saveexec_b64 s[50:51], vcc
	s_cbranch_execz .LBB8_126
; %bb.132:                              ;   in Loop: Header=BB8_129 Depth=2
	v_mov_b32_e32 v27, 1
	s_xor_b64 s[48:49], exec, -1
	ds_write_b32 v0, v6
	s_trap 2
	s_branch .LBB8_126
.LBB8_133:                              ;   in Loop: Header=BB8_55 Depth=1
	s_or_b64 exec, exec, s[40:41]
.LBB8_134:                              ;   in Loop: Header=BB8_55 Depth=1
	s_or_b64 exec, exec, s[38:39]
.LBB8_135:                              ;   in Loop: Header=BB8_55 Depth=1
	s_or_b64 exec, exec, s[36:37]
	s_and_saveexec_b64 s[36:37], s[8:9]
	s_cbranch_execz .LBB8_137
; %bb.136:                              ;   in Loop: Header=BB8_55 Depth=1
	v_and_b32_e32 v40, 0x7ffffff8, v4
	v_cmp_eq_u64_e32 vcc, s[34:35], v[40:41]
	v_accvgpr_read_b32 v5, a33
	v_cndmask_b32_e32 v5, v5, v10, vcc
	v_lshlrev_b32_e32 v6, 4, v5
	v_and_b32_e32 v4, 7, v4
	v_ashrrev_i32_e32 v7, 31, v6
	v_mad_u64_u32 v[4:5], vcc, v4, 24, v[2:3]
	flat_store_dwordx2 v[4:5], v[6:7] offset:8
	s_waitcnt vmcnt(0)
.LBB8_137:                              ;   in Loop: Header=BB8_55 Depth=1
	s_or_b64 exec, exec, s[36:37]
	v_pk_mov_b32 v[4:5], v[0:1], v[0:1] op_sel:[0,1]
.LBB8_138:                              ;   in Loop: Header=BB8_55 Depth=1
	s_or_b64 exec, exec, s[16:17]
	s_and_saveexec_b64 s[16:17], s[10:11]
	s_cbranch_execz .LBB8_157
; %bb.139:                              ;   in Loop: Header=BB8_55 Depth=1
	s_and_saveexec_b64 vcc, s[28:29]
	s_xor_b64 s[36:37], exec, vcc
	s_cbranch_execz .LBB8_154
; %bb.140:                              ;   in Loop: Header=BB8_55 Depth=1
	s_and_saveexec_b64 s[38:39], s[12:13]
	s_cbranch_execz .LBB8_153
; %bb.141:                              ;   in Loop: Header=BB8_55 Depth=1
	s_mov_b64 s[42:43], exec
	v_mbcnt_lo_u32_b32 v0, s42, 0
	v_mbcnt_hi_u32_b32 v0, s43, v0
	v_cmp_eq_u32_e32 vcc, 0, v0
	s_waitcnt vmcnt(0) lgkmcnt(0)
	buffer_wbinvl1_vol
	s_and_saveexec_b64 s[40:41], vcc
	s_cbranch_execz .LBB8_143
; %bb.142:                              ;   in Loop: Header=BB8_55 Depth=1
	s_bcnt1_i32_b64 vcc_lo, s[42:43]
	v_mov_b32_e32 v40, vcc_lo
	ds_add_u64 v0, v[40:41]
	s_trap 2
.LBB8_143:                              ;   in Loop: Header=BB8_55 Depth=1
	s_or_b64 exec, exec, s[40:41]
	s_trap 2
	ds_read_b64 v[0:1], v0
	v_accvgpr_read_b32 v6, a22
	v_add_co_u32_e32 v52, vcc, v52, v6
	v_accvgpr_read_b32 v7, a11
	v_addc_co_u32_e32 v53, vcc, v53, v7, vcc
	s_waitcnt lgkmcnt(0)
	v_cmp_lt_u64_e32 vcc, v[0:1], v[52:53]
	s_and_saveexec_b64 s[40:41], vcc
	s_cbranch_execz .LBB8_152
; %bb.144:                              ;   in Loop: Header=BB8_55 Depth=1
	s_mov_b32 s55, 0
	s_mov_b64 s[42:43], 0
                                        ; implicit-def: $sgpr44_sgpr45
                                        ; implicit-def: $sgpr46_sgpr47
	s_branch .LBB8_146
.LBB8_145:                              ;   in Loop: Header=BB8_146 Depth=2
	s_or_b64 exec, exec, s[50:51]
	s_and_b64 vcc, exec, vcc
	s_or_b64 s[42:43], vcc, s[42:43]
	s_andn2_b64 vcc, s[44:45], exec
	s_and_b64 s[44:45], s[46:47], exec
	s_or_b64 s[44:45], vcc, s[44:45]
	s_andn2_b64 exec, exec, s[42:43]
	s_cbranch_execz .LBB8_150
.LBB8_146:                              ;   Parent Loop BB8_55 Depth=1
                                        ; =>  This Inner Loop Header: Depth=2
	s_add_i32 s55, s55, 1
	s_cmpk_lg_i32 s55, 0x2710
	s_cselect_b64 s[48:49], -1, 0
	s_and_b64 vcc, exec, s[48:49]
                                        ; implicit-def: $sgpr50_sgpr51
	s_cbranch_vccnz .LBB8_148
; %bb.147:                              ;   in Loop: Header=BB8_146 Depth=2
	s_trap 2
	ds_read_b64 v[0:1], v0
	s_andn2_b64 s[48:49], s[48:49], exec
	s_mov_b32 s55, 0
	s_mov_b64 s[50:51], -1
	s_waitcnt lgkmcnt(0)
	flat_load_dword v0, v[0:1] glc
	s_waitcnt vmcnt(0) lgkmcnt(0)
	buffer_invl2
	buffer_wbinvl1_vol
	v_cmp_eq_u32_e32 vcc, 0, v0
	s_and_b64 vcc, vcc, exec
	s_or_b64 s[48:49], s[48:49], vcc
.LBB8_148:                              ;   in Loop: Header=BB8_146 Depth=2
	s_andn2_b64 s[46:47], s[46:47], exec
	s_and_b64 s[50:51], s[50:51], exec
	s_mov_b64 vcc, -1
	s_or_b64 s[46:47], s[46:47], s[50:51]
	s_and_saveexec_b64 s[50:51], s[48:49]
	s_cbranch_execz .LBB8_145
; %bb.149:                              ;   in Loop: Header=BB8_146 Depth=2
	s_sleep 1
	s_trap 2
	ds_read_b64 v[0:1], v0
	s_andn2_b64 s[46:47], s[46:47], exec
	s_waitcnt lgkmcnt(0)
	v_cmp_ge_u64_e32 vcc, v[0:1], v[52:53]
	s_orn2_b64 vcc, vcc, exec
	s_branch .LBB8_145
.LBB8_150:                              ;   in Loop: Header=BB8_55 Depth=1
	s_or_b64 exec, exec, s[42:43]
	s_and_saveexec_b64 vcc, s[44:45]
	s_xor_b64 vcc, exec, vcc
	s_cbranch_execz .LBB8_152
; %bb.151:                              ;   in Loop: Header=BB8_55 Depth=1
	v_mov_b32_e32 v0, 1
	ds_write_b32 v0, v0
	s_trap 2
.LBB8_152:                              ;   in Loop: Header=BB8_55 Depth=1
	s_or_b64 exec, exec, s[40:41]
	;;#ASMSTART
	s_wakeup
	;;#ASMEND
.LBB8_153:                              ;   in Loop: Header=BB8_55 Depth=1
	s_or_b64 exec, exec, s[38:39]
.LBB8_154:                              ;   in Loop: Header=BB8_55 Depth=1
	s_andn2_saveexec_b64 vcc, s[36:37]
	s_cbranch_execz .LBB8_156
; %bb.155:                              ;   in Loop: Header=BB8_55 Depth=1
	s_waitcnt vmcnt(0) lgkmcnt(0)
	buffer_wbinvl1_vol
	s_barrier
.LBB8_156:                              ;   in Loop: Header=BB8_55 Depth=1
	s_or_b64 exec, exec, vcc
.LBB8_157:                              ;   in Loop: Header=BB8_55 Depth=1
	s_or_b64 exec, exec, s[16:17]
	v_sub_u32_e32 v8, v24, v46
	v_cmp_lt_i32_e32 vcc, 0, v8
	v_and_b32_e32 v1, 7, v16
	v_mov_b32_e32 v0, v26
	s_and_saveexec_b64 s[16:17], vcc
	s_cbranch_execz .LBB8_165
; %bb.158:                              ;   in Loop: Header=BB8_55 Depth=1
	v_mul_lo_u32 v6, v1, v10
	v_ashrrev_i32_e32 v7, 31, v6
	v_mov_b32_e32 v11, v16
	v_add_co_u32_e64 v9, vcc, 0, 0
	v_addc_co_u32_e32 v13, vcc, 1, v11, vcc
	v_lshlrev_b64 v[6:7], 4, v[6:7]
	v_accvgpr_read_b32 v0, a31
	v_add_co_u32_e32 v6, vcc, v0, v6
	v_accvgpr_read_b32 v0, a32
	v_mov_b32_e32 v49, v24
	v_addc_co_u32_e32 v7, vcc, v0, v7, vcc
	s_mov_b64 s[36:37], 0
	v_accvgpr_read_b32 v11, a28
	v_pk_mov_b32 v[18:19], v[58:59], v[58:59] op_sel:[0,1]
	v_mov_b32_e32 v0, v26
	s_branch .LBB8_160
.LBB8_159:                              ;   in Loop: Header=BB8_160 Depth=2
	s_or_b64 exec, exec, s[38:39]
	v_add_co_u32_e32 v18, vcc, v18, v56
	s_waitcnt vmcnt(0)
	v_alignbit_b32 v12, v48, v12, v11
	v_alignbit_b32 v14, v21, v48, v11
	v_sub_u32_e32 v8, v8, v56
	v_addc_co_u32_e32 v19, vcc, v19, v57, vcc
	v_or_b32_e32 v12, v9, v12
	v_or_b32_e32 v14, v9, v14
	v_mov_b32_e32 v15, v13
	v_cmp_gt_i32_e32 vcc, 1, v8
	global_store_dwordx4 v[6:7], v[12:15], off
	s_or_b64 s[36:37], vcc, s[36:37]
	v_accvgpr_read_b32 v12, a30
	v_add_co_u32_e32 v6, vcc, v6, v60
	v_add_u32_e32 v0, v0, v20
	v_add_u32_e32 v11, v11, v12
	v_addc_co_u32_e32 v7, vcc, v7, v61, vcc
	s_andn2_b64 exec, exec, s[36:37]
	s_cbranch_execz .LBB8_164
.LBB8_160:                              ;   Parent Loop BB8_55 Depth=1
                                        ; =>  This Inner Loop Header: Depth=2
	v_and_b32_e32 v14, -4, v18
	v_mov_b32_e32 v15, v19
	global_load_dword v12, v[14:15], off glc slc
	v_min_u32_e32 v24, 8, v8
	v_and_b32_e32 v25, 3, v18
	v_add_co_u32_e32 v30, vcc, v25, v24
	v_addc_co_u32_e64 v31, vcc, 0, 0, vcc
	v_mov_b32_e32 v21, 0
	v_cmp_lt_u64_e32 vcc, 4, v[30:31]
	v_mov_b32_e32 v48, 0
	s_and_saveexec_b64 s[38:39], vcc
	s_cbranch_execz .LBB8_162
; %bb.161:                              ;   in Loop: Header=BB8_160 Depth=2
	global_load_dword v48, v[14:15], off offset:4 glc slc
.LBB8_162:                              ;   in Loop: Header=BB8_160 Depth=2
	s_or_b64 exec, exec, s[38:39]
	v_cmp_lt_u64_e32 vcc, 8, v[30:31]
	s_and_saveexec_b64 s[38:39], vcc
	s_cbranch_execz .LBB8_159
; %bb.163:                              ;   in Loop: Header=BB8_160 Depth=2
	global_load_dword v21, v[14:15], off offset:8 glc slc
	s_branch .LBB8_159
.LBB8_164:                              ;   in Loop: Header=BB8_55 Depth=1
	s_or_b64 exec, exec, s[36:37]
	v_mov_b32_e32 v24, v49
.LBB8_165:                              ;   in Loop: Header=BB8_55 Depth=1
	s_or_b64 exec, exec, s[16:17]
	v_and_b32_e32 v40, 0x7ffffff8, v16
	v_cmp_eq_u64_e32 vcc, s[34:35], v[40:41]
	v_cmp_gt_i32_e64 s[16:17], v10, v0
	s_and_b64 s[16:17], vcc, s[16:17]
	s_and_saveexec_b64 s[36:37], s[16:17]
	s_cbranch_execz .LBB8_168
; %bb.166:                              ;   in Loop: Header=BB8_55 Depth=1
	v_mul_lo_u32 v6, v1, v10
	v_mov_b32_e32 v1, v16
	v_add_co_u32_e64 v12, vcc, 0, 0
	v_ashrrev_i32_e32 v7, 31, v6
	v_addc_co_u32_e32 v13, vcc, 1, v1, vcc
	v_ashrrev_i32_e32 v1, 31, v0
	v_lshlrev_b64 v[8:9], 4, v[0:1]
	v_lshlrev_b64 v[6:7], 4, v[6:7]
	v_add_co_u32_e32 v1, vcc, v8, v6
	v_addc_co_u32_e32 v7, vcc, v9, v7, vcc
	v_add_co_u32_e32 v6, vcc, v36, v1
	v_addc_co_u32_e32 v7, vcc, v37, v7, vcc
	s_mov_b64 s[38:39], 0
.LBB8_167:                              ;   Parent Loop BB8_55 Depth=1
                                        ; =>  This Inner Loop Header: Depth=2
	v_mov_b32_e32 v14, v12
	v_mov_b32_e32 v15, v13
	v_add_u32_e32 v0, v0, v20
	global_store_dwordx4 v[6:7], v[12:15], off
	v_cmp_ge_i32_e32 vcc, v0, v10
	v_add_co_u32_e64 v6, s[16:17], v6, v60
	s_or_b64 s[38:39], vcc, s[38:39]
	v_addc_co_u32_e64 v7, vcc, v7, v61, s[16:17]
	s_andn2_b64 exec, exec, s[38:39]
	s_cbranch_execnz .LBB8_167
.LBB8_168:                              ;   in Loop: Header=BB8_55 Depth=1
	s_or_b64 exec, exec, s[36:37]
.LBB8_169:                              ;   in Loop: Header=BB8_55 Depth=1
	s_or_b64 exec, exec, s[18:19]
	v_accvgpr_write_b32 a24, v46
	v_add_co_u32_e32 v46, vcc, 1, v16
	v_accvgpr_write_b32 a26, v47
	v_addc_co_u32_e32 v47, vcc, 0, v17, vcc
	v_accvgpr_read_b32 v0, a24
	s_andn2_b64 vcc, exec, s[30:31]
	v_sub_u32_e32 v21, v24, v0
	s_cbranch_vccnz .LBB8_171
; %bb.170:                              ;   in Loop: Header=BB8_55 Depth=1
	v_sub_u32_e32 v6, v24, v0
	s_cbranch_execz .LBB8_172
	s_branch .LBB8_269
.LBB8_171:                              ;   in Loop: Header=BB8_55 Depth=1
                                        ; implicit-def: $vgpr6
.LBB8_172:                              ;   in Loop: Header=BB8_55 Depth=1
	v_accvgpr_read_b32 v0, a23
	v_accvgpr_read_b32 v6, a36
	;; [unrolled: 1-line block ×3, first 2 shown]
	v_add_co_u32_e32 v44, vcc, v0, v6
	v_accvgpr_read_b32 v0, a25
	v_cmp_lt_i32_e64 s[16:17], 0, v21
	v_addc_co_u32_e32 v45, vcc, v0, v7, vcc
	v_add_u16_e32 v11, 1, v16
	s_mov_b32 s55, 1
.LBB8_173:                              ;   Parent Loop BB8_55 Depth=1
                                        ; =>  This Loop Header: Depth=2
                                        ;       Child Loop BB8_190 Depth 3
                                        ;       Child Loop BB8_206 Depth 3
	;; [unrolled: 1-line block ×3, first 2 shown]
                                        ;         Child Loop BB8_223 Depth 4
                                        ;       Child Loop BB8_257 Depth 3
                                        ;       Child Loop BB8_181 Depth 3
	s_sub_i32 s18, s52, s55
	s_ashr_i32 s19, s18, 31
	s_lshl_b64 s[18:19], s[18:19], 2
	v_mov_b32_e32 v1, s19
	v_add_co_u32_e32 v0, vcc, s18, v22
	v_addc_co_u32_e32 v1, vcc, v23, v1, vcc
	s_waitcnt vmcnt(0) lgkmcnt(0)
	flat_load_dword v6, v[0:1]
	s_and_saveexec_b64 s[18:19], s[6:7]
	s_cbranch_execnz .LBB8_184
; %bb.174:                              ;   in Loop: Header=BB8_173 Depth=2
	s_or_b64 exec, exec, s[18:19]
	s_and_saveexec_b64 s[18:19], s[10:11]
	s_cbranch_execnz .LBB8_199
.LBB8_175:                              ;   in Loop: Header=BB8_173 Depth=2
	s_or_b64 exec, exec, s[18:19]
	v_mov_b32_e32 v0, v26
	s_and_saveexec_b64 s[36:37], s[16:17]
	s_cbranch_execnz .LBB8_217
.LBB8_176:                              ;   in Loop: Header=BB8_173 Depth=2
	s_or_b64 exec, exec, s[36:37]
	s_and_saveexec_b64 s[18:19], s[10:11]
	s_cbranch_execnz .LBB8_250
.LBB8_177:                              ;   in Loop: Header=BB8_173 Depth=2
	s_or_b64 exec, exec, s[18:19]
	s_and_saveexec_b64 s[18:19], s[14:15]
	s_cbranch_execz .LBB8_179
.LBB8_178:                              ;   in Loop: Header=BB8_173 Depth=2
	v_add_co_u32_e32 v38, vcc, 1, v38
	s_waitcnt vmcnt(0) lgkmcnt(0)
	v_accvgpr_read_b32 v6, a16
	v_addc_co_u32_e32 v39, vcc, 0, v39, vcc
	v_accvgpr_read_b32 v7, a17
	flat_store_dwordx2 v[6:7], v[38:39]
.LBB8_179:                              ;   in Loop: Header=BB8_173 Depth=2
	s_or_b64 exec, exec, s[18:19]
	v_and_b32_e32 v40, 0x7ffffff8, v46
	v_cmp_eq_u64_e32 vcc, s[34:35], v[40:41]
	v_cmp_gt_i32_e64 s[18:19], v10, v0
	s_and_b64 s[18:19], vcc, s[18:19]
	s_and_saveexec_b64 s[36:37], s[18:19]
	s_cbranch_execz .LBB8_182
; %bb.180:                              ;   in Loop: Header=BB8_173 Depth=2
	v_and_b32_e32 v1, 7, v11
	s_waitcnt vmcnt(0) lgkmcnt(0)
	v_mul_lo_u32 v6, v10, v1
	v_mov_b32_e32 v1, v46
	v_add_co_u32_e64 v12, vcc, 0, 0
	v_ashrrev_i32_e32 v7, 31, v6
	v_addc_co_u32_e32 v13, vcc, 1, v1, vcc
	v_ashrrev_i32_e32 v1, 31, v0
	v_lshlrev_b64 v[6:7], 4, v[6:7]
	v_lshlrev_b64 v[8:9], 4, v[0:1]
	v_add_co_u32_e32 v1, vcc, v8, v6
	v_addc_co_u32_e32 v7, vcc, v9, v7, vcc
	v_add_co_u32_e32 v6, vcc, v36, v1
	v_addc_co_u32_e32 v7, vcc, v37, v7, vcc
	s_mov_b64 s[38:39], 0
.LBB8_181:                              ;   Parent Loop BB8_55 Depth=1
                                        ;     Parent Loop BB8_173 Depth=2
                                        ; =>    This Inner Loop Header: Depth=3
	v_mov_b32_e32 v14, v12
	v_mov_b32_e32 v15, v13
	v_add_u32_e32 v0, v0, v20
	global_store_dwordx4 v[6:7], v[12:15], off
	v_cmp_ge_i32_e32 vcc, v0, v10
	v_add_co_u32_e64 v6, s[18:19], v6, v60
	s_or_b64 s[38:39], vcc, s[38:39]
	v_addc_co_u32_e64 v7, vcc, v7, v61, s[18:19]
	s_andn2_b64 exec, exec, s[38:39]
	s_cbranch_execnz .LBB8_181
.LBB8_182:                              ;   in Loop: Header=BB8_173 Depth=2
	s_or_b64 exec, exec, s[36:37]
	v_add_co_u32_e32 v34, vcc, 1, v34
	v_addc_co_u32_e32 v35, vcc, 0, v35, vcc
	s_add_i32 s18, s55, 1
	v_add_co_u32_e32 v46, vcc, 1, v46
	v_addc_co_u32_e32 v47, vcc, 0, v47, vcc
	s_cmp_eq_u32 s55, s53
	v_add_u16_e32 v11, 1, v11
	s_cbranch_scc1 .LBB8_268
; %bb.183:                              ;   in Loop: Header=BB8_173 Depth=2
	s_mov_b32 s55, s18
	s_branch .LBB8_173
.LBB8_184:                              ;   in Loop: Header=BB8_173 Depth=2
	v_add_co_u32_e32 v0, vcc, 1, v4
	v_addc_co_u32_e32 v1, vcc, 0, v5, vcc
	s_waitcnt vmcnt(0) lgkmcnt(0)
	v_add_co_u32_e32 v8, vcc, 8, v54
	v_addc_co_u32_e32 v9, vcc, 0, v55, vcc
	v_cmp_lt_u64_e32 vcc, v[8:9], v[0:1]
	s_and_saveexec_b64 s[36:37], vcc
	s_cbranch_execz .LBB8_196
; %bb.185:                              ;   in Loop: Header=BB8_173 Depth=2
	s_sleep 1
	flat_load_dwordx2 v[54:55], v[50:51] glc
	v_cmp_eq_u32_e32 vcc, 0, v27
	s_and_saveexec_b64 s[38:39], vcc
	s_cbranch_execz .LBB8_195
; %bb.186:                              ;   in Loop: Header=BB8_173 Depth=2
	v_cndmask_b32_e64 v5, 0, 1, vcc
	s_mov_b64 s[40:41], 0
                                        ; implicit-def: $sgpr42_sgpr43
	s_branch .LBB8_190
.LBB8_187:                              ;   in Loop: Header=BB8_190 Depth=3
	s_or_b64 exec, exec, s[50:51]
	s_orn2_b64 s[48:49], s[48:49], exec
.LBB8_188:                              ;   in Loop: Header=BB8_190 Depth=3
	s_or_b64 exec, exec, s[46:47]
	s_xor_b64 vcc, s[48:49], -1
	s_andn2_b64 s[42:43], s[42:43], exec
	s_and_b64 vcc, vcc, exec
	s_or_b64 s[42:43], s[42:43], vcc
.LBB8_189:                              ;   in Loop: Header=BB8_190 Depth=3
	s_or_b64 exec, exec, s[44:45]
	s_and_b64 vcc, exec, s[42:43]
	s_or_b64 s[40:41], vcc, s[40:41]
	s_andn2_b64 exec, exec, s[40:41]
	s_cbranch_execz .LBB8_194
.LBB8_190:                              ;   Parent Loop BB8_55 Depth=1
                                        ;     Parent Loop BB8_173 Depth=2
                                        ; =>    This Inner Loop Header: Depth=3
	s_waitcnt vmcnt(0) lgkmcnt(0)
	v_add_co_u32_e32 v8, vcc, 8, v54
	v_addc_co_u32_e32 v9, vcc, 0, v55, vcc
	v_cmp_lt_u64_e32 vcc, v[8:9], v[0:1]
	v_mov_b32_e32 v27, 0
	s_or_b64 s[42:43], s[42:43], exec
	s_and_saveexec_b64 s[44:45], vcc
	s_cbranch_execz .LBB8_189
; %bb.191:                              ;   in Loop: Header=BB8_190 Depth=3
	s_sleep 1
	flat_load_dwordx2 v[54:55], v[50:51] glc
	v_add_u32_e32 v5, 1, v5
	v_cmp_eq_u32_e32 vcc, s54, v5
	s_mov_b64 s[48:49], -1
	v_mov_b32_e32 v27, 0
	s_and_saveexec_b64 s[46:47], vcc
	s_cbranch_execz .LBB8_188
; %bb.192:                              ;   in Loop: Header=BB8_190 Depth=3
	s_trap 2
	ds_read_b64 v[8:9], v0
	v_mov_b32_e32 v5, 0
	v_mov_b32_e32 v27, 0
	s_waitcnt vmcnt(0) lgkmcnt(0)
	flat_load_dword v7, v[8:9] glc
	s_waitcnt vmcnt(0) lgkmcnt(0)
	buffer_invl2
	buffer_wbinvl1_vol
	v_cmp_ne_u32_e32 vcc, 0, v7
	s_and_saveexec_b64 s[50:51], vcc
	s_cbranch_execz .LBB8_187
; %bb.193:                              ;   in Loop: Header=BB8_190 Depth=3
	v_mov_b32_e32 v27, 1
	s_xor_b64 s[48:49], exec, -1
	ds_write_b32 v0, v7
	s_trap 2
	s_branch .LBB8_187
.LBB8_194:                              ;   in Loop: Header=BB8_173 Depth=2
	s_or_b64 exec, exec, s[40:41]
.LBB8_195:                              ;   in Loop: Header=BB8_173 Depth=2
	s_or_b64 exec, exec, s[38:39]
.LBB8_196:                              ;   in Loop: Header=BB8_173 Depth=2
	s_or_b64 exec, exec, s[36:37]
	s_and_saveexec_b64 s[36:37], s[8:9]
	s_cbranch_execz .LBB8_198
; %bb.197:                              ;   in Loop: Header=BB8_173 Depth=2
	v_and_b32_e32 v40, 0x7ffffff8, v4
	v_cmp_eq_u64_e32 vcc, s[34:35], v[40:41]
	v_accvgpr_read_b32 v5, a33
	v_cndmask_b32_e32 v5, v5, v10, vcc
	v_lshlrev_b32_e32 v8, 4, v5
	v_and_b32_e32 v4, 7, v4
	v_ashrrev_i32_e32 v9, 31, v8
	v_mad_u64_u32 v[4:5], vcc, v4, 24, v[2:3]
	flat_store_dwordx2 v[4:5], v[8:9] offset:8
	s_waitcnt vmcnt(0)
.LBB8_198:                              ;   in Loop: Header=BB8_173 Depth=2
	s_or_b64 exec, exec, s[36:37]
	v_pk_mov_b32 v[4:5], v[0:1], v[0:1] op_sel:[0,1]
	s_or_b64 exec, exec, s[18:19]
	s_and_saveexec_b64 s[18:19], s[10:11]
	s_cbranch_execz .LBB8_175
.LBB8_199:                              ;   in Loop: Header=BB8_173 Depth=2
	s_and_saveexec_b64 vcc, s[28:29]
	s_xor_b64 s[36:37], exec, vcc
	s_cbranch_execz .LBB8_214
; %bb.200:                              ;   in Loop: Header=BB8_173 Depth=2
	s_and_saveexec_b64 s[38:39], s[12:13]
	s_cbranch_execz .LBB8_213
; %bb.201:                              ;   in Loop: Header=BB8_173 Depth=2
	s_mov_b64 s[42:43], exec
	v_mbcnt_lo_u32_b32 v0, s42, 0
	v_mbcnt_hi_u32_b32 v0, s43, v0
	v_cmp_eq_u32_e32 vcc, 0, v0
	s_waitcnt vmcnt(0) lgkmcnt(0)
	buffer_wbinvl1_vol
	s_and_saveexec_b64 s[40:41], vcc
	s_cbranch_execz .LBB8_203
; %bb.202:                              ;   in Loop: Header=BB8_173 Depth=2
	s_bcnt1_i32_b64 vcc_lo, s[42:43]
	v_mov_b32_e32 v40, vcc_lo
	ds_add_u64 v0, v[40:41]
	s_trap 2
.LBB8_203:                              ;   in Loop: Header=BB8_173 Depth=2
	s_or_b64 exec, exec, s[40:41]
	s_trap 2
	ds_read_b64 v[0:1], v0
	v_accvgpr_read_b32 v8, a22
	v_add_co_u32_e32 v52, vcc, v52, v8
	v_accvgpr_read_b32 v7, a11
	v_addc_co_u32_e32 v53, vcc, v53, v7, vcc
	s_waitcnt lgkmcnt(0)
	v_cmp_lt_u64_e32 vcc, v[0:1], v[52:53]
	s_and_saveexec_b64 s[40:41], vcc
	s_cbranch_execz .LBB8_212
; %bb.204:                              ;   in Loop: Header=BB8_173 Depth=2
	s_mov_b32 s56, 0
	s_mov_b64 s[42:43], 0
                                        ; implicit-def: $sgpr44_sgpr45
                                        ; implicit-def: $sgpr46_sgpr47
	s_branch .LBB8_206
.LBB8_205:                              ;   in Loop: Header=BB8_206 Depth=3
	s_or_b64 exec, exec, s[50:51]
	s_and_b64 vcc, exec, vcc
	s_or_b64 s[42:43], vcc, s[42:43]
	s_andn2_b64 vcc, s[44:45], exec
	s_and_b64 s[44:45], s[46:47], exec
	s_or_b64 s[44:45], vcc, s[44:45]
	s_andn2_b64 exec, exec, s[42:43]
	s_cbranch_execz .LBB8_210
.LBB8_206:                              ;   Parent Loop BB8_55 Depth=1
                                        ;     Parent Loop BB8_173 Depth=2
                                        ; =>    This Inner Loop Header: Depth=3
	s_add_i32 s56, s56, 1
	s_cmpk_lg_i32 s56, 0x2710
	s_cselect_b64 s[48:49], -1, 0
	s_and_b64 vcc, exec, s[48:49]
                                        ; implicit-def: $sgpr50_sgpr51
	s_cbranch_vccnz .LBB8_208
; %bb.207:                              ;   in Loop: Header=BB8_206 Depth=3
	s_trap 2
	ds_read_b64 v[0:1], v0
	s_andn2_b64 s[48:49], s[48:49], exec
	s_mov_b32 s56, 0
	s_mov_b64 s[50:51], -1
	s_waitcnt lgkmcnt(0)
	flat_load_dword v0, v[0:1] glc
	s_waitcnt vmcnt(0) lgkmcnt(0)
	buffer_invl2
	buffer_wbinvl1_vol
	v_cmp_eq_u32_e32 vcc, 0, v0
	s_and_b64 vcc, vcc, exec
	s_or_b64 s[48:49], s[48:49], vcc
.LBB8_208:                              ;   in Loop: Header=BB8_206 Depth=3
	s_andn2_b64 s[46:47], s[46:47], exec
	s_and_b64 s[50:51], s[50:51], exec
	s_mov_b64 vcc, -1
	s_or_b64 s[46:47], s[46:47], s[50:51]
	s_and_saveexec_b64 s[50:51], s[48:49]
	s_cbranch_execz .LBB8_205
; %bb.209:                              ;   in Loop: Header=BB8_206 Depth=3
	s_sleep 1
	s_trap 2
	ds_read_b64 v[0:1], v0
	s_andn2_b64 s[46:47], s[46:47], exec
	s_waitcnt lgkmcnt(0)
	v_cmp_ge_u64_e32 vcc, v[0:1], v[52:53]
	s_orn2_b64 vcc, vcc, exec
	s_branch .LBB8_205
.LBB8_210:                              ;   in Loop: Header=BB8_173 Depth=2
	s_or_b64 exec, exec, s[42:43]
	s_and_saveexec_b64 vcc, s[44:45]
	s_xor_b64 vcc, exec, vcc
	s_cbranch_execz .LBB8_212
; %bb.211:                              ;   in Loop: Header=BB8_173 Depth=2
	v_mov_b32_e32 v0, 1
	ds_write_b32 v0, v0
	s_trap 2
.LBB8_212:                              ;   in Loop: Header=BB8_173 Depth=2
	s_or_b64 exec, exec, s[40:41]
	;;#ASMSTART
	s_wakeup
	;;#ASMEND
.LBB8_213:                              ;   in Loop: Header=BB8_173 Depth=2
	s_or_b64 exec, exec, s[38:39]
.LBB8_214:                              ;   in Loop: Header=BB8_173 Depth=2
	s_andn2_saveexec_b64 vcc, s[36:37]
	s_cbranch_execz .LBB8_216
; %bb.215:                              ;   in Loop: Header=BB8_173 Depth=2
	s_waitcnt vmcnt(0) lgkmcnt(0)
	buffer_wbinvl1_vol
	s_barrier
.LBB8_216:                              ;   in Loop: Header=BB8_173 Depth=2
	s_or_b64 exec, exec, vcc
	s_or_b64 exec, exec, s[18:19]
	v_mov_b32_e32 v0, v26
	s_and_saveexec_b64 s[36:37], s[16:17]
	s_cbranch_execz .LBB8_176
.LBB8_217:                              ;   in Loop: Header=BB8_173 Depth=2
	s_waitcnt vmcnt(0) lgkmcnt(0)
	v_ashrrev_i32_e32 v0, 31, v6
	v_accvgpr_read_b32 v1, a1
	v_mad_u64_u32 v[30:31], s[18:19], v62, v6, v[44:45]
	v_mul_lo_u32 v1, v1, v6
	v_mul_lo_u32 v0, v62, v0
	v_add3_u32 v31, v1, v31, v0
	v_and_b32_e32 v0, 7, v34
	v_mul_lo_u32 v0, v0, v10
	v_ashrrev_i32_e32 v1, 31, v0
	v_lshlrev_b64 v[0:1], 4, v[0:1]
	v_add_co_u32_e32 v40, vcc, v32, v0
	v_and_b32_e32 v0, 7, v46
	v_mul_lo_u32 v0, v0, v10
	v_addc_co_u32_e32 v9, vcc, v33, v1, vcc
	v_ashrrev_i32_e32 v1, 31, v0
	v_lshlrev_b64 v[0:1], 4, v[0:1]
	v_add_co_u32_e32 v49, vcc, v36, v0
	v_addc_co_u32_e32 v8, vcc, v37, v1, vcc
	v_mov_b32_e32 v1, v46
	v_add_co_u32_e64 v42, vcc, 0, 0
	v_add_u32_e32 v48, 1, v34
	v_addc_co_u32_e32 v13, vcc, 1, v1, vcc
	s_mov_b64 s[38:39], 0
	v_mov_b32_e32 v43, v21
	v_mov_b32_e32 v0, v26
	s_branch .LBB8_219
.LBB8_218:                              ;   in Loop: Header=BB8_219 Depth=3
	v_add_co_u32_e32 v30, vcc, v30, v56
	v_addc_co_u32_e32 v31, vcc, v31, v57, vcc
	v_sub_u32_e32 v43, v43, v56
	v_cmp_gt_i32_e32 vcc, 1, v43
	s_or_b64 s[38:39], vcc, s[38:39]
	v_add_u32_e32 v0, v0, v20
	s_andn2_b64 exec, exec, s[38:39]
	s_cbranch_execz .LBB8_249
.LBB8_219:                              ;   Parent Loop BB8_55 Depth=1
                                        ;     Parent Loop BB8_173 Depth=2
                                        ; =>    This Loop Header: Depth=3
                                        ;         Child Loop BB8_223 Depth 4
	v_ashrrev_i32_e32 v1, 31, v0
	v_lshlrev_b64 v[14:15], 4, v[0:1]
	v_add_co_u32_e32 v6, vcc, v40, v14
	v_addc_co_u32_e32 v7, vcc, v9, v15, vcc
	global_load_dwordx4 v[16:19], v[6:7], off glc slc
	v_cmp_eq_u32_e32 vcc, 0, v27
	s_and_saveexec_b64 s[40:41], vcc
	s_cbranch_execz .LBB8_231
; %bb.220:                              ;   in Loop: Header=BB8_219 Depth=3
	s_waitcnt vmcnt(0)
	v_cmp_ne_u32_e32 vcc, v48, v17
	v_cmp_ne_u32_e64 s[18:19], v48, v19
	s_or_b64 s[18:19], vcc, s[18:19]
	v_mov_b32_e32 v27, 0
	s_and_saveexec_b64 s[42:43], s[18:19]
	s_cbranch_execz .LBB8_230
; %bb.221:                              ;   in Loop: Header=BB8_219 Depth=3
	s_mov_b32 s48, 1
	s_mov_b64 s[44:45], 0
	v_mov_b32_e32 v27, 0
	s_branch .LBB8_223
.LBB8_222:                              ;   in Loop: Header=BB8_223 Depth=4
	s_or_b64 exec, exec, s[46:47]
	s_and_b64 s[18:19], exec, s[18:19]
	s_or_b64 s[44:45], s[18:19], s[44:45]
	s_andn2_b64 exec, exec, s[44:45]
	s_cbranch_execz .LBB8_229
.LBB8_223:                              ;   Parent Loop BB8_55 Depth=1
                                        ;     Parent Loop BB8_173 Depth=2
                                        ;       Parent Loop BB8_219 Depth=3
                                        ; =>      This Inner Loop Header: Depth=4
	global_load_dwordx4 v[16:19], v[6:7], off glc slc
	s_add_i32 s48, s48, 1
	s_cmpk_lg_i32 s48, 0x2710
	s_cbranch_scc1 .LBB8_227
; %bb.224:                              ;   in Loop: Header=BB8_223 Depth=4
	s_trap 2
	ds_read_b64 v[24:25], v0
	s_waitcnt vmcnt(0) lgkmcnt(0)
	flat_load_dword v1, v[24:25] glc
	s_waitcnt vmcnt(0) lgkmcnt(0)
	buffer_invl2
	buffer_wbinvl1_vol
	v_cmp_ne_u32_e32 vcc, 0, v1
	s_and_saveexec_b64 s[18:19], vcc
	s_cbranch_execz .LBB8_226
; %bb.225:                              ;   in Loop: Header=BB8_223 Depth=4
	v_mov_b32_e32 v27, 1
	ds_write_b32 v0, v1
	s_trap 2
.LBB8_226:                              ;   in Loop: Header=BB8_223 Depth=4
	s_or_b64 exec, exec, s[18:19]
	s_mov_b32 s48, 0
	v_mov_b32_e32 v1, v27
	v_cmp_eq_u32_e32 vcc, 0, v1
	s_mov_b64 s[18:19], -1
	s_and_saveexec_b64 s[46:47], vcc
	s_cbranch_execz .LBB8_222
	s_branch .LBB8_228
.LBB8_227:                              ;   in Loop: Header=BB8_223 Depth=4
	v_mov_b32_e32 v1, 0
	v_cmp_eq_u32_e32 vcc, 0, v1
	s_mov_b64 s[18:19], -1
	s_and_saveexec_b64 s[46:47], vcc
	s_cbranch_execz .LBB8_222
.LBB8_228:                              ;   in Loop: Header=BB8_223 Depth=4
	s_waitcnt vmcnt(0)
	v_cmp_eq_u32_e32 vcc, v48, v17
	v_cmp_eq_u32_e64 s[18:19], v48, v19
	s_and_b64 s[18:19], vcc, s[18:19]
	s_orn2_b64 s[18:19], s[18:19], exec
	s_branch .LBB8_222
.LBB8_229:                              ;   in Loop: Header=BB8_219 Depth=3
	s_or_b64 exec, exec, s[44:45]
.LBB8_230:                              ;   in Loop: Header=BB8_219 Depth=3
	s_or_b64 exec, exec, s[42:43]
.LBB8_231:                              ;   in Loop: Header=BB8_219 Depth=3
	s_or_b64 exec, exec, s[40:41]
	v_add_co_u32_e32 v6, vcc, v49, v14
	v_addc_co_u32_e32 v7, vcc, v8, v15, vcc
	s_waitcnt vmcnt(0)
	v_or_b32_e32 v12, v16, v42
	v_or_b32_e32 v14, v18, v42
	v_mov_b32_e32 v15, v13
	v_cmp_lt_u32_e32 vcc, 7, v43
	global_store_dwordx4 v[6:7], v[12:15], off
	v_cndmask_b32_e64 v6, 0, 1, vcc
	;;#ASMSTART
	;;#ASMEND
	v_cmp_ne_u32_e64 s[18:19], 0, v6
	v_mov_b32_e32 v1, v18
	s_cmp_lg_u64 s[18:19], exec
	s_mov_b64 s[18:19], -1
	s_cbranch_scc0 .LBB8_241
; %bb.232:                              ;   in Loop: Header=BB8_219 Depth=3
	v_cmp_ne_u32_e64 s[18:19], 1, v43
	flat_store_byte v[30:31], v16
	s_and_saveexec_b64 s[40:41], s[18:19]
	s_cbranch_execnz .LBB8_243
; %bb.233:                              ;   in Loop: Header=BB8_219 Depth=3
	s_or_b64 exec, exec, s[40:41]
	v_cmp_lt_u32_e64 s[18:19], 2, v43
	s_and_saveexec_b64 s[40:41], s[18:19]
	s_cbranch_execnz .LBB8_244
.LBB8_234:                              ;   in Loop: Header=BB8_219 Depth=3
	s_or_b64 exec, exec, s[40:41]
	v_cmp_lt_u32_e64 s[18:19], 3, v43
	s_and_saveexec_b64 s[40:41], s[18:19]
	s_cbranch_execnz .LBB8_245
.LBB8_235:                              ;   in Loop: Header=BB8_219 Depth=3
	s_or_b64 exec, exec, s[40:41]
	v_cmp_lt_u32_e64 s[18:19], 4, v43
	s_and_saveexec_b64 s[40:41], s[18:19]
	s_cbranch_execnz .LBB8_246
.LBB8_236:                              ;   in Loop: Header=BB8_219 Depth=3
	s_or_b64 exec, exec, s[40:41]
	v_cmp_lt_u32_e64 s[18:19], 5, v43
	s_and_saveexec_b64 s[40:41], s[18:19]
	s_cbranch_execnz .LBB8_247
.LBB8_237:                              ;   in Loop: Header=BB8_219 Depth=3
	s_or_b64 exec, exec, s[40:41]
	v_cmp_lt_u32_e64 s[18:19], 6, v43
	s_and_saveexec_b64 s[40:41], s[18:19]
	s_cbranch_execnz .LBB8_248
.LBB8_238:                              ;   in Loop: Header=BB8_219 Depth=3
	s_or_b64 exec, exec, s[40:41]
	s_and_saveexec_b64 s[18:19], vcc
	s_cbranch_execz .LBB8_240
.LBB8_239:                              ;   in Loop: Header=BB8_219 Depth=3
	v_lshrrev_b32_e32 v6, 24, v1
	flat_store_byte v[30:31], v6 offset:7
.LBB8_240:                              ;   in Loop: Header=BB8_219 Depth=3
	s_or_b64 exec, exec, s[18:19]
	s_mov_b64 s[18:19], 0
.LBB8_241:                              ;   in Loop: Header=BB8_219 Depth=3
	s_and_b64 vcc, exec, s[18:19]
	s_cbranch_vccz .LBB8_218
; %bb.242:                              ;   in Loop: Header=BB8_219 Depth=3
	v_or_b32_e32 v17, 0, v1
	global_store_dwordx2 v[30:31], v[16:17], off
	s_branch .LBB8_218
.LBB8_243:                              ;   in Loop: Header=BB8_219 Depth=3
	v_lshrrev_b32_e32 v6, 8, v16
	flat_store_byte v[30:31], v6 offset:1
	s_or_b64 exec, exec, s[40:41]
	v_cmp_lt_u32_e64 s[18:19], 2, v43
	s_and_saveexec_b64 s[40:41], s[18:19]
	s_cbranch_execz .LBB8_234
.LBB8_244:                              ;   in Loop: Header=BB8_219 Depth=3
	flat_store_byte_d16_hi v[30:31], v16 offset:2
	s_or_b64 exec, exec, s[40:41]
	v_cmp_lt_u32_e64 s[18:19], 3, v43
	s_and_saveexec_b64 s[40:41], s[18:19]
	s_cbranch_execz .LBB8_235
.LBB8_245:                              ;   in Loop: Header=BB8_219 Depth=3
	v_lshrrev_b32_e32 v6, 24, v16
	flat_store_byte v[30:31], v6 offset:3
	s_or_b64 exec, exec, s[40:41]
	v_cmp_lt_u32_e64 s[18:19], 4, v43
	s_and_saveexec_b64 s[40:41], s[18:19]
	s_cbranch_execz .LBB8_236
.LBB8_246:                              ;   in Loop: Header=BB8_219 Depth=3
	flat_store_byte v[30:31], v18 offset:4
	s_or_b64 exec, exec, s[40:41]
	v_cmp_lt_u32_e64 s[18:19], 5, v43
	s_and_saveexec_b64 s[40:41], s[18:19]
	s_cbranch_execz .LBB8_237
.LBB8_247:                              ;   in Loop: Header=BB8_219 Depth=3
	v_lshrrev_b32_e32 v6, 8, v1
	flat_store_byte v[30:31], v6 offset:5
	s_or_b64 exec, exec, s[40:41]
	v_cmp_lt_u32_e64 s[18:19], 6, v43
	s_and_saveexec_b64 s[40:41], s[18:19]
	s_cbranch_execz .LBB8_238
.LBB8_248:                              ;   in Loop: Header=BB8_219 Depth=3
	flat_store_byte_d16_hi v[30:31], v1 offset:6
	s_or_b64 exec, exec, s[40:41]
	s_and_saveexec_b64 s[18:19], vcc
	s_cbranch_execnz .LBB8_239
	s_branch .LBB8_240
.LBB8_249:                              ;   in Loop: Header=BB8_173 Depth=2
	s_or_b64 exec, exec, s[38:39]
	s_or_b64 exec, exec, s[36:37]
	s_and_saveexec_b64 s[18:19], s[10:11]
	s_cbranch_execz .LBB8_177
.LBB8_250:                              ;   in Loop: Header=BB8_173 Depth=2
	s_and_saveexec_b64 vcc, s[28:29]
	s_xor_b64 s[36:37], exec, vcc
	s_cbranch_execz .LBB8_265
; %bb.251:                              ;   in Loop: Header=BB8_173 Depth=2
	s_and_saveexec_b64 s[38:39], s[12:13]
	s_cbranch_execz .LBB8_264
; %bb.252:                              ;   in Loop: Header=BB8_173 Depth=2
	s_mov_b64 s[42:43], exec
	v_mbcnt_lo_u32_b32 v1, s42, 0
	v_mbcnt_hi_u32_b32 v1, s43, v1
	v_cmp_eq_u32_e32 vcc, 0, v1
	s_waitcnt vmcnt(0) lgkmcnt(0)
	buffer_wbinvl1_vol
	s_and_saveexec_b64 s[40:41], vcc
	s_cbranch_execz .LBB8_254
; %bb.253:                              ;   in Loop: Header=BB8_173 Depth=2
	s_bcnt1_i32_b64 vcc_lo, s[42:43]
	v_mov_b32_e32 v40, vcc_lo
	ds_add_u64 v0, v[40:41]
	s_trap 2
.LBB8_254:                              ;   in Loop: Header=BB8_173 Depth=2
	s_or_b64 exec, exec, s[40:41]
	s_trap 2
	ds_read_b64 v[6:7], v0
	v_accvgpr_read_b32 v8, a22
	v_add_co_u32_e32 v52, vcc, v52, v8
	v_accvgpr_read_b32 v1, a11
	v_addc_co_u32_e32 v53, vcc, v53, v1, vcc
	s_waitcnt lgkmcnt(0)
	v_cmp_lt_u64_e32 vcc, v[6:7], v[52:53]
	s_and_saveexec_b64 s[40:41], vcc
	s_cbranch_execz .LBB8_263
; %bb.255:                              ;   in Loop: Header=BB8_173 Depth=2
	s_mov_b32 s56, 0
	s_mov_b64 s[42:43], 0
                                        ; implicit-def: $sgpr44_sgpr45
                                        ; implicit-def: $sgpr46_sgpr47
	s_branch .LBB8_257
.LBB8_256:                              ;   in Loop: Header=BB8_257 Depth=3
	s_or_b64 exec, exec, s[50:51]
	s_and_b64 vcc, exec, vcc
	s_or_b64 s[42:43], vcc, s[42:43]
	s_andn2_b64 vcc, s[44:45], exec
	s_and_b64 s[44:45], s[46:47], exec
	s_or_b64 s[44:45], vcc, s[44:45]
	s_andn2_b64 exec, exec, s[42:43]
	s_cbranch_execz .LBB8_261
.LBB8_257:                              ;   Parent Loop BB8_55 Depth=1
                                        ;     Parent Loop BB8_173 Depth=2
                                        ; =>    This Inner Loop Header: Depth=3
	s_add_i32 s56, s56, 1
	s_cmpk_lg_i32 s56, 0x2710
	s_cselect_b64 s[48:49], -1, 0
	s_and_b64 vcc, exec, s[48:49]
                                        ; implicit-def: $sgpr50_sgpr51
	s_cbranch_vccnz .LBB8_259
; %bb.258:                              ;   in Loop: Header=BB8_257 Depth=3
	s_trap 2
	ds_read_b64 v[6:7], v0
	s_andn2_b64 s[48:49], s[48:49], exec
	s_mov_b32 s56, 0
	s_mov_b64 s[50:51], -1
	s_waitcnt lgkmcnt(0)
	flat_load_dword v1, v[6:7] glc
	s_waitcnt vmcnt(0) lgkmcnt(0)
	buffer_invl2
	buffer_wbinvl1_vol
	v_cmp_eq_u32_e32 vcc, 0, v1
	s_and_b64 vcc, vcc, exec
	s_or_b64 s[48:49], s[48:49], vcc
.LBB8_259:                              ;   in Loop: Header=BB8_257 Depth=3
	s_andn2_b64 s[46:47], s[46:47], exec
	s_and_b64 s[50:51], s[50:51], exec
	s_mov_b64 vcc, -1
	s_or_b64 s[46:47], s[46:47], s[50:51]
	s_and_saveexec_b64 s[50:51], s[48:49]
	s_cbranch_execz .LBB8_256
; %bb.260:                              ;   in Loop: Header=BB8_257 Depth=3
	s_sleep 1
	s_trap 2
	ds_read_b64 v[6:7], v0
	s_andn2_b64 s[46:47], s[46:47], exec
	s_waitcnt lgkmcnt(0)
	v_cmp_ge_u64_e32 vcc, v[6:7], v[52:53]
	s_orn2_b64 vcc, vcc, exec
	s_branch .LBB8_256
.LBB8_261:                              ;   in Loop: Header=BB8_173 Depth=2
	s_or_b64 exec, exec, s[42:43]
	s_and_saveexec_b64 vcc, s[44:45]
	s_xor_b64 vcc, exec, vcc
	s_cbranch_execz .LBB8_263
; %bb.262:                              ;   in Loop: Header=BB8_173 Depth=2
	v_mov_b32_e32 v1, 1
	ds_write_b32 v0, v1
	s_trap 2
.LBB8_263:                              ;   in Loop: Header=BB8_173 Depth=2
	s_or_b64 exec, exec, s[40:41]
	;;#ASMSTART
	s_wakeup
	;;#ASMEND
.LBB8_264:                              ;   in Loop: Header=BB8_173 Depth=2
	s_or_b64 exec, exec, s[38:39]
.LBB8_265:                              ;   in Loop: Header=BB8_173 Depth=2
	s_andn2_saveexec_b64 vcc, s[36:37]
	s_cbranch_execz .LBB8_267
; %bb.266:                              ;   in Loop: Header=BB8_173 Depth=2
	s_waitcnt vmcnt(0) lgkmcnt(0)
	buffer_wbinvl1_vol
	s_barrier
.LBB8_267:                              ;   in Loop: Header=BB8_173 Depth=2
	s_or_b64 exec, exec, vcc
	s_or_b64 exec, exec, s[18:19]
	s_and_saveexec_b64 s[18:19], s[14:15]
	s_cbranch_execnz .LBB8_178
	s_branch .LBB8_179
.LBB8_268:                              ;   in Loop: Header=BB8_55 Depth=1
	s_waitcnt vmcnt(0) lgkmcnt(0)
	v_mov_b32_e32 v6, v21
.LBB8_269:                              ;   in Loop: Header=BB8_55 Depth=1
	v_pk_mov_b32 v[16:17], v[46:47], v[46:47] op_sel:[0,1]
	v_cmp_lt_i32_e32 vcc, 0, v6
	s_mov_b64 s[18:19], exec
	s_and_b64 s[16:17], s[18:19], vcc
	v_accvgpr_read_b32 v46, a24
	v_accvgpr_read_b32 v47, a26
	s_mov_b64 exec, s[16:17]
	s_cbranch_execnz .LBB8_272
; %bb.270:                              ;   in Loop: Header=BB8_55 Depth=1
	s_or_b64 exec, exec, s[18:19]
	s_and_saveexec_b64 s[16:17], s[10:11]
	s_cbranch_execnz .LBB8_305
.LBB8_271:                              ;   in Loop: Header=BB8_55 Depth=1
	s_or_b64 exec, exec, s[16:17]
	s_and_saveexec_b64 s[16:17], s[14:15]
	s_cbranch_execz .LBB8_54
	s_branch .LBB8_323
.LBB8_272:                              ;   in Loop: Header=BB8_55 Depth=1
	flat_load_dword v11, v[22:23] offset:4
	v_accvgpr_read_b32 v15, a9
	v_and_b32_e32 v8, 7, v34
	v_accvgpr_read_b32 v12, a6
	v_accvgpr_read_b32 v0, a36
	v_mul_lo_u32 v8, v8, v10
	v_accvgpr_read_b32 v13, a7
	v_accvgpr_read_b32 v1, a37
	v_add_co_u32_e32 v0, vcc, v12, v0
	v_ashrrev_i32_e32 v9, 31, v8
	v_addc_co_u32_e32 v1, vcc, v13, v1, vcc
	v_lshlrev_b64 v[8:9], 4, v[8:9]
	v_add_co_u32_e32 v8, vcc, v32, v8
	v_accvgpr_read_b32 v13, a1
	v_addc_co_u32_e32 v9, vcc, v33, v9, vcc
	v_add_u32_e32 v7, 1, v34
	s_mov_b64 s[36:37], 0
	v_mov_b32_e32 v18, v26
	v_accvgpr_read_b32 v14, a8
	s_waitcnt vmcnt(0) lgkmcnt(0)
	v_ashrrev_i32_e32 v12, 31, v11
	v_mul_lo_u32 v13, v13, v11
	v_mad_u64_u32 v[0:1], s[16:17], v62, v11, v[0:1]
	v_mul_lo_u32 v11, v62, v12
	v_add3_u32 v1, v13, v1, v11
	v_add_co_u32_e32 v0, vcc, v0, v46
	v_accvgpr_read_b32 v11, a19
	v_addc_co_u32_e32 v1, vcc, v1, v11, vcc
	s_branch .LBB8_274
.LBB8_273:                              ;   in Loop: Header=BB8_274 Depth=2
	v_add_co_u32_e32 v0, vcc, v0, v56
	v_addc_co_u32_e32 v1, vcc, v1, v57, vcc
	v_sub_u32_e32 v6, v6, v56
	v_cmp_gt_i32_e32 vcc, 1, v6
	s_or_b64 s[36:37], vcc, s[36:37]
	v_add_u32_e32 v18, v18, v20
	s_andn2_b64 exec, exec, s[36:37]
	s_cbranch_execz .LBB8_304
.LBB8_274:                              ;   Parent Loop BB8_55 Depth=1
                                        ; =>  This Loop Header: Depth=2
                                        ;       Child Loop BB8_278 Depth 3
	v_ashrrev_i32_e32 v19, 31, v18
	v_lshlrev_b64 v[12:13], 4, v[18:19]
	v_add_co_u32_e32 v30, vcc, v8, v12
	v_addc_co_u32_e32 v31, vcc, v9, v13, vcc
	global_load_dwordx4 v[12:15], v[30:31], off glc slc
	v_cmp_eq_u32_e32 vcc, 0, v27
	s_and_saveexec_b64 s[38:39], vcc
	s_cbranch_execz .LBB8_286
; %bb.275:                              ;   in Loop: Header=BB8_274 Depth=2
	s_waitcnt vmcnt(0)
	v_cmp_ne_u32_e32 vcc, v7, v13
	v_cmp_ne_u32_e64 s[16:17], v7, v15
	s_or_b64 s[16:17], vcc, s[16:17]
	v_mov_b32_e32 v27, 0
	s_and_saveexec_b64 s[40:41], s[16:17]
	s_cbranch_execz .LBB8_285
; %bb.276:                              ;   in Loop: Header=BB8_274 Depth=2
	s_mov_b32 s46, 1
	s_mov_b64 s[42:43], 0
	v_mov_b32_e32 v27, 0
	s_branch .LBB8_278
.LBB8_277:                              ;   in Loop: Header=BB8_278 Depth=3
	s_or_b64 exec, exec, s[44:45]
	s_and_b64 s[16:17], exec, s[16:17]
	s_or_b64 s[42:43], s[16:17], s[42:43]
	s_andn2_b64 exec, exec, s[42:43]
	s_cbranch_execz .LBB8_284
.LBB8_278:                              ;   Parent Loop BB8_55 Depth=1
                                        ;     Parent Loop BB8_274 Depth=2
                                        ; =>    This Inner Loop Header: Depth=3
	global_load_dwordx4 v[12:15], v[30:31], off glc slc
	s_add_i32 s46, s46, 1
	s_cmpk_lg_i32 s46, 0x2710
	s_cbranch_scc1 .LBB8_282
; %bb.279:                              ;   in Loop: Header=BB8_278 Depth=3
	s_trap 2
	ds_read_b64 v[48:49], v0
	s_waitcnt vmcnt(0) lgkmcnt(0)
	flat_load_dword v11, v[48:49] glc
	s_waitcnt vmcnt(0) lgkmcnt(0)
	buffer_invl2
	buffer_wbinvl1_vol
	v_cmp_ne_u32_e32 vcc, 0, v11
	s_and_saveexec_b64 s[16:17], vcc
	s_cbranch_execz .LBB8_281
; %bb.280:                              ;   in Loop: Header=BB8_278 Depth=3
	v_mov_b32_e32 v27, 1
	ds_write_b32 v0, v11
	s_trap 2
.LBB8_281:                              ;   in Loop: Header=BB8_278 Depth=3
	s_or_b64 exec, exec, s[16:17]
	s_mov_b32 s46, 0
	v_mov_b32_e32 v11, v27
	v_cmp_eq_u32_e32 vcc, 0, v11
	s_mov_b64 s[16:17], -1
	s_and_saveexec_b64 s[44:45], vcc
	s_cbranch_execz .LBB8_277
	s_branch .LBB8_283
.LBB8_282:                              ;   in Loop: Header=BB8_278 Depth=3
	v_mov_b32_e32 v11, 0
	v_cmp_eq_u32_e32 vcc, 0, v11
	s_mov_b64 s[16:17], -1
	s_and_saveexec_b64 s[44:45], vcc
	s_cbranch_execz .LBB8_277
.LBB8_283:                              ;   in Loop: Header=BB8_278 Depth=3
	s_waitcnt vmcnt(0)
	v_cmp_eq_u32_e32 vcc, v7, v13
	v_cmp_eq_u32_e64 s[16:17], v7, v15
	s_and_b64 s[16:17], vcc, s[16:17]
	s_orn2_b64 s[16:17], s[16:17], exec
	s_branch .LBB8_277
.LBB8_284:                              ;   in Loop: Header=BB8_274 Depth=2
	s_or_b64 exec, exec, s[42:43]
.LBB8_285:                              ;   in Loop: Header=BB8_274 Depth=2
	s_or_b64 exec, exec, s[40:41]
.LBB8_286:                              ;   in Loop: Header=BB8_274 Depth=2
	s_or_b64 exec, exec, s[38:39]
	v_cmp_lt_u32_e32 vcc, 7, v6
	v_cndmask_b32_e64 v11, 0, 1, vcc
	;;#ASMSTART
	;;#ASMEND
	v_cmp_ne_u32_e64 s[16:17], 0, v11
	s_waitcnt vmcnt(0)
	v_mov_b32_e32 v13, v14
	s_cmp_lg_u64 s[16:17], exec
	s_mov_b64 s[16:17], -1
	s_cbranch_scc0 .LBB8_296
; %bb.287:                              ;   in Loop: Header=BB8_274 Depth=2
	v_cmp_ne_u32_e64 s[16:17], 1, v6
	flat_store_byte v[0:1], v12
	s_and_saveexec_b64 s[38:39], s[16:17]
	s_cbranch_execnz .LBB8_298
; %bb.288:                              ;   in Loop: Header=BB8_274 Depth=2
	s_or_b64 exec, exec, s[38:39]
	v_cmp_lt_u32_e64 s[16:17], 2, v6
	s_and_saveexec_b64 s[38:39], s[16:17]
	s_cbranch_execnz .LBB8_299
.LBB8_289:                              ;   in Loop: Header=BB8_274 Depth=2
	s_or_b64 exec, exec, s[38:39]
	v_cmp_lt_u32_e64 s[16:17], 3, v6
	s_and_saveexec_b64 s[38:39], s[16:17]
	s_cbranch_execnz .LBB8_300
.LBB8_290:                              ;   in Loop: Header=BB8_274 Depth=2
	s_or_b64 exec, exec, s[38:39]
	v_cmp_lt_u32_e64 s[16:17], 4, v6
	s_and_saveexec_b64 s[38:39], s[16:17]
	s_cbranch_execnz .LBB8_301
.LBB8_291:                              ;   in Loop: Header=BB8_274 Depth=2
	s_or_b64 exec, exec, s[38:39]
	v_cmp_lt_u32_e64 s[16:17], 5, v6
	s_and_saveexec_b64 s[38:39], s[16:17]
	s_cbranch_execnz .LBB8_302
.LBB8_292:                              ;   in Loop: Header=BB8_274 Depth=2
	s_or_b64 exec, exec, s[38:39]
	v_cmp_lt_u32_e64 s[16:17], 6, v6
	s_and_saveexec_b64 s[38:39], s[16:17]
	s_cbranch_execnz .LBB8_303
.LBB8_293:                              ;   in Loop: Header=BB8_274 Depth=2
	s_or_b64 exec, exec, s[38:39]
	s_and_saveexec_b64 s[16:17], vcc
	s_cbranch_execz .LBB8_295
.LBB8_294:                              ;   in Loop: Header=BB8_274 Depth=2
	v_lshrrev_b32_e32 v11, 24, v13
	flat_store_byte v[0:1], v11 offset:7
.LBB8_295:                              ;   in Loop: Header=BB8_274 Depth=2
	s_or_b64 exec, exec, s[16:17]
	s_mov_b64 s[16:17], 0
.LBB8_296:                              ;   in Loop: Header=BB8_274 Depth=2
	s_and_b64 vcc, exec, s[16:17]
	s_cbranch_vccz .LBB8_273
; %bb.297:                              ;   in Loop: Header=BB8_274 Depth=2
	global_store_dwordx2 v[0:1], v[12:13], off
	s_branch .LBB8_273
.LBB8_298:                              ;   in Loop: Header=BB8_274 Depth=2
	v_lshrrev_b32_e32 v11, 8, v12
	flat_store_byte v[0:1], v11 offset:1
	s_or_b64 exec, exec, s[38:39]
	v_cmp_lt_u32_e64 s[16:17], 2, v6
	s_and_saveexec_b64 s[38:39], s[16:17]
	s_cbranch_execz .LBB8_289
.LBB8_299:                              ;   in Loop: Header=BB8_274 Depth=2
	flat_store_byte_d16_hi v[0:1], v12 offset:2
	s_or_b64 exec, exec, s[38:39]
	v_cmp_lt_u32_e64 s[16:17], 3, v6
	s_and_saveexec_b64 s[38:39], s[16:17]
	s_cbranch_execz .LBB8_290
.LBB8_300:                              ;   in Loop: Header=BB8_274 Depth=2
	v_lshrrev_b32_e32 v11, 24, v12
	flat_store_byte v[0:1], v11 offset:3
	s_or_b64 exec, exec, s[38:39]
	v_cmp_lt_u32_e64 s[16:17], 4, v6
	s_and_saveexec_b64 s[38:39], s[16:17]
	s_cbranch_execz .LBB8_291
.LBB8_301:                              ;   in Loop: Header=BB8_274 Depth=2
	flat_store_byte v[0:1], v14 offset:4
	s_or_b64 exec, exec, s[38:39]
	v_cmp_lt_u32_e64 s[16:17], 5, v6
	s_and_saveexec_b64 s[38:39], s[16:17]
	s_cbranch_execz .LBB8_292
.LBB8_302:                              ;   in Loop: Header=BB8_274 Depth=2
	v_lshrrev_b32_e32 v11, 8, v13
	flat_store_byte v[0:1], v11 offset:5
	s_or_b64 exec, exec, s[38:39]
	v_cmp_lt_u32_e64 s[16:17], 6, v6
	s_and_saveexec_b64 s[38:39], s[16:17]
	s_cbranch_execz .LBB8_293
.LBB8_303:                              ;   in Loop: Header=BB8_274 Depth=2
	flat_store_byte_d16_hi v[0:1], v13 offset:6
	s_or_b64 exec, exec, s[38:39]
	s_and_saveexec_b64 s[16:17], vcc
	s_cbranch_execnz .LBB8_294
	s_branch .LBB8_295
.LBB8_304:                              ;   in Loop: Header=BB8_55 Depth=1
	s_or_b64 exec, exec, s[36:37]
	s_or_b64 exec, exec, s[18:19]
	s_and_saveexec_b64 s[16:17], s[10:11]
	s_cbranch_execz .LBB8_271
.LBB8_305:                              ;   in Loop: Header=BB8_55 Depth=1
	s_and_saveexec_b64 s[18:19], s[28:29]
	s_xor_b64 s[18:19], exec, s[18:19]
	s_cbranch_execz .LBB8_320
; %bb.306:                              ;   in Loop: Header=BB8_55 Depth=1
	s_and_saveexec_b64 s[36:37], s[12:13]
	s_cbranch_execz .LBB8_319
; %bb.307:                              ;   in Loop: Header=BB8_55 Depth=1
	s_mov_b64 s[40:41], exec
	v_mbcnt_lo_u32_b32 v0, s40, 0
	v_mbcnt_hi_u32_b32 v0, s41, v0
	v_cmp_eq_u32_e32 vcc, 0, v0
	s_waitcnt vmcnt(0) lgkmcnt(0)
	buffer_wbinvl1_vol
	s_and_saveexec_b64 s[38:39], vcc
	s_cbranch_execz .LBB8_309
; %bb.308:                              ;   in Loop: Header=BB8_55 Depth=1
	s_bcnt1_i32_b64 vcc_lo, s[40:41]
	v_mov_b32_e32 v40, vcc_lo
	ds_add_u64 v0, v[40:41]
	s_trap 2
.LBB8_309:                              ;   in Loop: Header=BB8_55 Depth=1
	s_or_b64 exec, exec, s[38:39]
	s_trap 2
	ds_read_b64 v[0:1], v0
	v_accvgpr_read_b32 v6, a22
	v_add_co_u32_e32 v52, vcc, v52, v6
	v_accvgpr_read_b32 v7, a11
	v_addc_co_u32_e32 v53, vcc, v53, v7, vcc
	s_waitcnt lgkmcnt(0)
	v_cmp_lt_u64_e32 vcc, v[0:1], v[52:53]
	s_and_saveexec_b64 s[38:39], vcc
	s_cbranch_execz .LBB8_318
; %bb.310:                              ;   in Loop: Header=BB8_55 Depth=1
	s_mov_b32 s50, 0
	s_mov_b64 s[40:41], 0
                                        ; implicit-def: $sgpr42_sgpr43
                                        ; implicit-def: $sgpr44_sgpr45
	s_branch .LBB8_312
.LBB8_311:                              ;   in Loop: Header=BB8_312 Depth=2
	s_or_b64 exec, exec, s[48:49]
	s_and_b64 vcc, exec, vcc
	s_or_b64 s[40:41], vcc, s[40:41]
	s_andn2_b64 vcc, s[42:43], exec
	s_and_b64 s[42:43], s[44:45], exec
	s_or_b64 s[42:43], vcc, s[42:43]
	s_andn2_b64 exec, exec, s[40:41]
	s_cbranch_execz .LBB8_316
.LBB8_312:                              ;   Parent Loop BB8_55 Depth=1
                                        ; =>  This Inner Loop Header: Depth=2
	s_add_i32 s50, s50, 1
	s_cmpk_lg_i32 s50, 0x2710
	s_cselect_b64 s[46:47], -1, 0
	s_and_b64 vcc, exec, s[46:47]
                                        ; implicit-def: $sgpr48_sgpr49
	s_cbranch_vccnz .LBB8_314
; %bb.313:                              ;   in Loop: Header=BB8_312 Depth=2
	s_trap 2
	ds_read_b64 v[0:1], v0
	s_andn2_b64 s[46:47], s[46:47], exec
	s_mov_b32 s50, 0
	s_mov_b64 s[48:49], -1
	s_waitcnt lgkmcnt(0)
	flat_load_dword v0, v[0:1] glc
	s_waitcnt vmcnt(0) lgkmcnt(0)
	buffer_invl2
	buffer_wbinvl1_vol
	v_cmp_eq_u32_e32 vcc, 0, v0
	s_and_b64 vcc, vcc, exec
	s_or_b64 s[46:47], s[46:47], vcc
.LBB8_314:                              ;   in Loop: Header=BB8_312 Depth=2
	s_andn2_b64 s[44:45], s[44:45], exec
	s_and_b64 s[48:49], s[48:49], exec
	s_mov_b64 vcc, -1
	s_or_b64 s[44:45], s[44:45], s[48:49]
	s_and_saveexec_b64 s[48:49], s[46:47]
	s_cbranch_execz .LBB8_311
; %bb.315:                              ;   in Loop: Header=BB8_312 Depth=2
	s_sleep 1
	s_trap 2
	ds_read_b64 v[0:1], v0
	s_andn2_b64 s[44:45], s[44:45], exec
	s_waitcnt lgkmcnt(0)
	v_cmp_ge_u64_e32 vcc, v[0:1], v[52:53]
	s_orn2_b64 vcc, vcc, exec
	s_branch .LBB8_311
.LBB8_316:                              ;   in Loop: Header=BB8_55 Depth=1
	s_or_b64 exec, exec, s[40:41]
	s_and_saveexec_b64 vcc, s[42:43]
	s_xor_b64 vcc, exec, vcc
	s_cbranch_execz .LBB8_318
; %bb.317:                              ;   in Loop: Header=BB8_55 Depth=1
	v_mov_b32_e32 v0, 1
	ds_write_b32 v0, v0
	s_trap 2
.LBB8_318:                              ;   in Loop: Header=BB8_55 Depth=1
	s_or_b64 exec, exec, s[38:39]
	;;#ASMSTART
	s_wakeup
	;;#ASMEND
.LBB8_319:                              ;   in Loop: Header=BB8_55 Depth=1
	s_or_b64 exec, exec, s[36:37]
.LBB8_320:                              ;   in Loop: Header=BB8_55 Depth=1
	s_andn2_saveexec_b64 s[18:19], s[18:19]
	s_cbranch_execz .LBB8_322
; %bb.321:                              ;   in Loop: Header=BB8_55 Depth=1
	s_waitcnt vmcnt(0) lgkmcnt(0)
	buffer_wbinvl1_vol
	s_barrier
.LBB8_322:                              ;   in Loop: Header=BB8_55 Depth=1
	s_or_b64 exec, exec, s[18:19]
	s_or_b64 exec, exec, s[16:17]
	s_and_saveexec_b64 s[16:17], s[14:15]
	s_cbranch_execz .LBB8_54
.LBB8_323:                              ;   in Loop: Header=BB8_55 Depth=1
	v_add_co_u32_e32 v38, vcc, 1, v38
	v_accvgpr_read_b32 v0, a16
	v_addc_co_u32_e32 v39, vcc, 0, v39, vcc
	v_accvgpr_read_b32 v1, a17
	flat_store_dwordx2 v[0:1], v[38:39]
	s_branch .LBB8_54
.LBB8_324:
	s_or_b64 exec, exec, s[26:27]
	v_accvgpr_read_b32 v8, a12
	v_accvgpr_read_b32 v19, a15
	;; [unrolled: 1-line block ×6, first 2 shown]
.LBB8_325:
	s_or_b64 exec, exec, s[24:25]
; %bb.326:
	s_and_saveexec_b64 s[6:7], s[22:23]
	s_cbranch_execnz .LBB8_329
; %bb.327:
	s_or_b64 exec, exec, s[6:7]
	s_and_saveexec_b64 s[6:7], s[4:5]
	s_cbranch_execnz .LBB8_330
.LBB8_328:
	s_or_b64 exec, exec, s[6:7]
	v_cmp_ne_u32_e32 vcc, 64, v20
	s_and_saveexec_b64 s[4:5], vcc
	s_cbranch_execnz .LBB8_331
	s_branch .LBB8_348
.LBB8_329:
	s_waitcnt vmcnt(0) lgkmcnt(0)
	flat_store_dwordx2 v[18:19], v[38:39] offset:104
	s_or_b64 exec, exec, s[6:7]
	s_and_saveexec_b64 s[6:7], s[4:5]
	s_cbranch_execz .LBB8_328
.LBB8_330:
	s_waitcnt vmcnt(0) lgkmcnt(0)
	flat_store_dwordx2 v[8:9], v[4:5] offset:104
	s_or_b64 exec, exec, s[6:7]
	v_cmp_ne_u32_e32 vcc, 64, v20
	s_and_saveexec_b64 s[4:5], vcc
	s_cbranch_execz .LBB8_348
.LBB8_331:
	v_cmp_ne_u32_sdwa s[6:7], v14, v20 src0_sel:WORD_0 src1_sel:DWORD
	s_and_saveexec_b64 s[8:9], s[6:7]
	s_xor_b64 s[6:7], exec, s[8:9]
	s_cbranch_execz .LBB8_346
; %bb.332:
	v_and_b32_e32 v0, 63, v11
	v_cmp_eq_u32_e32 vcc, 0, v0
	s_and_saveexec_b64 s[8:9], vcc
	s_cbranch_execz .LBB8_345
; %bb.333:
	s_mov_b64 s[12:13], exec
	v_mbcnt_lo_u32_b32 v0, s12, 0
	v_mbcnt_hi_u32_b32 v0, s13, v0
	v_cmp_eq_u32_e32 vcc, 0, v0
	s_waitcnt vmcnt(0) lgkmcnt(0)
	buffer_wbinvl1_vol
	s_and_saveexec_b64 s[10:11], vcc
	s_cbranch_execz .LBB8_335
; %bb.334:
	s_bcnt1_i32_b64 s12, s[12:13]
	v_mov_b32_e32 v0, s12
	v_mov_b32_e32 v1, 0
	ds_add_u64 v0, v[0:1]
	s_trap 2
.LBB8_335:
	s_or_b64 exec, exec, s[10:11]
	v_ashrrev_i32_e32 v0, 31, v20
	v_lshrrev_b32_e32 v0, 26, v0
	v_add_u32_e32 v0, v20, v0
	v_ashrrev_i32_e32 v0, 6, v0
	s_trap 2
	ds_read_b64 v[2:3], v0
	v_ashrrev_i32_e32 v1, 31, v0
	v_add_co_u32_e32 v0, vcc, v52, v0
	v_addc_co_u32_e32 v1, vcc, v53, v1, vcc
	s_waitcnt lgkmcnt(0)
	v_cmp_lt_u64_e32 vcc, v[2:3], v[0:1]
	s_and_saveexec_b64 s[10:11], vcc
	s_cbranch_execz .LBB8_344
; %bb.336:
	s_mov_b32 s26, 0
	s_mov_b64 s[12:13], 0
                                        ; implicit-def: $sgpr14_sgpr15
                                        ; implicit-def: $sgpr16_sgpr17
	s_branch .LBB8_338
.LBB8_337:                              ;   in Loop: Header=BB8_338 Depth=1
	s_or_b64 exec, exec, s[24:25]
	s_and_b64 s[18:19], exec, s[22:23]
	s_or_b64 s[12:13], s[18:19], s[12:13]
	s_andn2_b64 s[14:15], s[14:15], exec
	s_and_b64 s[18:19], s[16:17], exec
	s_or_b64 s[14:15], s[14:15], s[18:19]
	s_andn2_b64 exec, exec, s[12:13]
	s_cbranch_execz .LBB8_342
.LBB8_338:                              ; =>This Inner Loop Header: Depth=1
	s_add_i32 s26, s26, 1
	s_cmpk_lg_i32 s26, 0x2710
	s_cselect_b64 s[18:19], -1, 0
	s_and_b64 vcc, exec, s[18:19]
                                        ; implicit-def: $sgpr24_sgpr25
	s_cbranch_vccnz .LBB8_340
; %bb.339:                              ;   in Loop: Header=BB8_338 Depth=1
	s_trap 2
	ds_read_b64 v[2:3], v0
	s_andn2_b64 s[18:19], s[18:19], exec
	s_mov_b32 s26, 0
	s_mov_b64 s[24:25], -1
	s_waitcnt lgkmcnt(0)
	flat_load_dword v2, v[2:3] glc
	s_waitcnt vmcnt(0) lgkmcnt(0)
	buffer_invl2
	buffer_wbinvl1_vol
	v_cmp_eq_u32_e32 vcc, 0, v2
	s_and_b64 s[22:23], vcc, exec
	s_or_b64 s[18:19], s[18:19], s[22:23]
.LBB8_340:                              ;   in Loop: Header=BB8_338 Depth=1
	s_andn2_b64 s[16:17], s[16:17], exec
	s_and_b64 s[24:25], s[24:25], exec
	s_mov_b64 s[22:23], -1
	s_or_b64 s[16:17], s[16:17], s[24:25]
	s_and_saveexec_b64 s[24:25], s[18:19]
	s_cbranch_execz .LBB8_337
; %bb.341:                              ;   in Loop: Header=BB8_338 Depth=1
	s_sleep 1
	s_trap 2
	ds_read_b64 v[2:3], v0
	s_andn2_b64 s[16:17], s[16:17], exec
	s_waitcnt lgkmcnt(0)
	v_cmp_ge_u64_e32 vcc, v[2:3], v[0:1]
	s_orn2_b64 s[22:23], vcc, exec
	s_branch .LBB8_337
.LBB8_342:
	s_or_b64 exec, exec, s[12:13]
	s_and_saveexec_b64 s[12:13], s[14:15]
	s_xor_b64 s[12:13], exec, s[12:13]
	s_cbranch_execz .LBB8_344
; %bb.343:
	v_mov_b32_e32 v0, 1
	ds_write_b32 v0, v0
	s_trap 2
.LBB8_344:
	s_or_b64 exec, exec, s[10:11]
	;;#ASMSTART
	s_wakeup
	;;#ASMEND
.LBB8_345:
	s_or_b64 exec, exec, s[8:9]
.LBB8_346:
	s_andn2_saveexec_b64 s[6:7], s[6:7]
	s_cbranch_execz .LBB8_348
; %bb.347:
	s_waitcnt vmcnt(0) lgkmcnt(0)
	buffer_wbinvl1_vol
	s_barrier
.LBB8_348:
	s_or_b64 exec, exec, s[4:5]
.LBB8_349:
	s_or_b64 exec, exec, s[20:21]
	buffer_load_dword a37, off, s[0:3], s32 ; 4-byte Folded Reload
	buffer_load_dword a36, off, s[0:3], s32 offset:4 ; 4-byte Folded Reload
	buffer_load_dword a35, off, s[0:3], s32 offset:8 ; 4-byte Folded Reload
	;; [unrolled: 1-line block ×20, first 2 shown]
	v_readlane_b32 s30, v63, 23
	v_readlane_b32 s31, v63, 24
	;; [unrolled: 1-line block ×25, first 2 shown]
	s_or_saveexec_b64 s[4:5], -1
	buffer_load_dword v63, off, s[0:3], s32 offset:84 ; 4-byte Folded Reload
	s_mov_b64 exec, s[4:5]
	s_waitcnt vmcnt(0) lgkmcnt(0)
	s_setpc_b64 s[30:31]
.Lfunc_end8:
	.size	_ZN12_GLOBAL__N_17runRingIa7FuncSumIaE7ProtoLLLi0ELi2ELi0ELb0EEEviiP15ncclDevWorkColl, .Lfunc_end8-_ZN12_GLOBAL__N_17runRingIa7FuncSumIaE7ProtoLLLi0ELi2ELi0ELb0EEEviiP15ncclDevWorkColl
                                        ; -- End function
	.section	.AMDGPU.csdata,"",@progbits
; Function info:
; codeLenInByte = 11560
; NumSgprs: 61
; NumVgprs: 64
; NumAgprs: 38
; TotalNumVgprs: 102
; ScratchSize: 92
; MemoryBound: 0
	.text
	.p2align	2                               ; -- Begin function _Z42ncclDevFunc_AllGather_RING_LL_Sum_i8_0_0_2v
	.type	_Z42ncclDevFunc_AllGather_RING_LL_Sum_i8_0_0_2v,@function
_Z42ncclDevFunc_AllGather_RING_LL_Sum_i8_0_0_2v: ; @_Z42ncclDevFunc_AllGather_RING_LL_Sum_i8_0_0_2v
; %bb.0:
	s_waitcnt vmcnt(0) expcnt(0) lgkmcnt(0)
	s_mov_b32 s4, s33
	s_mov_b32 s33, s32
	s_or_saveexec_b64 s[6:7], -1
	buffer_store_dword v43, off, s[0:3], s33 offset:16 ; 4-byte Folded Spill
	s_mov_b64 exec, s[6:7]
	v_writelane_b32 v43, s4, 33
	s_addk_i32 s32, 0x800
	buffer_store_dword v40, off, s[0:3], s33 offset:12 ; 4-byte Folded Spill
	buffer_store_dword v41, off, s[0:3], s33 offset:8 ; 4-byte Folded Spill
	;; [unrolled: 1-line block ×3, first 2 shown]
	buffer_store_dword v63, off, s[0:3], s33 ; 4-byte Folded Spill
	v_writelane_b32 v43, s34, 0
	v_writelane_b32 v43, s35, 1
	;; [unrolled: 1-line block ×33, first 2 shown]
	s_trap 2
	ds_read_b32 v0, v0
	v_mov_b32_e32 v40, v31
	s_mov_b32 s57, s12
	s_mov_b64 s[58:59], s[8:9]
	s_waitcnt lgkmcnt(0)
	v_cmp_gt_i32_e32 vcc, 1, v0
	s_cbranch_vccnz .LBB9_8
; %bb.1:
	s_mov_b32 s64, 0
	v_and_b32_e32 v41, 0x3ff, v40
	s_mov_b64 s[60:61], src_shared_base
	v_mov_b32_e32 v42, 6
	s_branch .LBB9_3
.LBB9_2:                                ;   in Loop: Header=BB9_3 Depth=1
	s_or_b64 exec, exec, s[62:63]
	s_trap 2
	ds_read_b32 v0, v0
	s_add_i32 s64, s64, 1
	s_waitcnt lgkmcnt(0)
	v_cmp_lt_i32_e32 vcc, s64, v0
	s_cbranch_vccz .LBB9_8
.LBB9_3:                                ; =>This Inner Loop Header: Depth=1
	s_trap 2
	ds_read_b32 v0, v0
	s_cmp_eq_u32 s64, 0
	s_cbranch_scc1 .LBB9_6
; %bb.4:                                ;   in Loop: Header=BB9_3 Depth=1
	s_trap 2
	s_waitcnt lgkmcnt(0)
	ds_read_b32 v1, v0
	s_waitcnt lgkmcnt(0)
	v_xor_b32_e32 v1, v1, v0
	v_and_b32_e32 v1, 0xff0000, v1
	v_cmp_eq_u32_e32 vcc, 0, v1
	s_cbranch_vccnz .LBB9_6
; %bb.5:                                ;   in Loop: Header=BB9_3 Depth=1
	s_barrier
	ds_read_b32 v0, v0
.LBB9_6:                                ;   in Loop: Header=BB9_3 Depth=1
	s_waitcnt lgkmcnt(0)
	v_lshlrev_b32_sdwa v1, v42, v0 dst_sel:DWORD dst_unused:UNUSED_PAD src0_sel:DWORD src1_sel:BYTE_2
	v_cmp_lt_u32_e32 vcc, v41, v1
	s_and_saveexec_b64 s[62:63], vcc
	s_cbranch_execz .LBB9_2
; %bb.7:                                ;   in Loop: Header=BB9_3 Depth=1
	s_mov_b64 s[8:9], s[58:59]
	s_mov_b32 s12, s57
	v_mov_b32_e32 v31, v40
	v_mov_b32_e32 v0, v41
	;; [unrolled: 1-line block ×3, first 2 shown]
	s_getpc_b64 s[4:5]
	s_add_u32 s4, s4, _ZN12_GLOBAL__N_17runRingIa7FuncSumIaE7ProtoLLLi0ELi2ELi0ELb0EEEviiP15ncclDevWorkColl@rel32@lo+4
	s_addc_u32 s5, s5, _ZN12_GLOBAL__N_17runRingIa7FuncSumIaE7ProtoLLLi0ELi2ELi0ELb0EEEviiP15ncclDevWorkColl@rel32@hi+12
	s_swappc_b64 s[30:31], s[4:5]
	s_branch .LBB9_2
.LBB9_8:
	buffer_load_dword v63, off, s[0:3], s33 ; 4-byte Folded Reload
	buffer_load_dword v42, off, s[0:3], s33 offset:4 ; 4-byte Folded Reload
	buffer_load_dword v41, off, s[0:3], s33 offset:8 ; 4-byte Folded Reload
	buffer_load_dword v40, off, s[0:3], s33 offset:12 ; 4-byte Folded Reload
	v_readlane_b32 s30, v43, 31
	v_readlane_b32 s31, v43, 32
	;; [unrolled: 1-line block ×34, first 2 shown]
	s_or_saveexec_b64 s[6:7], -1
	buffer_load_dword v43, off, s[0:3], s33 offset:16 ; 4-byte Folded Reload
	s_mov_b64 exec, s[6:7]
	s_addk_i32 s32, 0xf800
	s_mov_b32 s33, s4
	s_waitcnt vmcnt(0)
	s_setpc_b64 s[30:31]
.Lfunc_end9:
	.size	_Z42ncclDevFunc_AllGather_RING_LL_Sum_i8_0_0_2v, .Lfunc_end9-_Z42ncclDevFunc_AllGather_RING_LL_Sum_i8_0_0_2v
                                        ; -- End function
	.section	.AMDGPU.csdata,"",@progbits
; Function info:
; codeLenInByte = 908
; NumSgprs: 69
; NumVgprs: 64
; NumAgprs: 38
; TotalNumVgprs: 102
; ScratchSize: 124
; MemoryBound: 0
	.text
	.p2align	2                               ; -- Begin function _ZN12_GLOBAL__N_17runRingIa7FuncSumIaE11ProtoSimpleILi2ELi2ELi0ELi2ELi0ELi0EELi0ELi2ELi0ELb0EEEviiP15ncclDevWorkColl
	.type	_ZN12_GLOBAL__N_17runRingIa7FuncSumIaE11ProtoSimpleILi2ELi2ELi0ELi2ELi0ELi0EELi0ELi2ELi0ELb0EEEviiP15ncclDevWorkColl,@function
_ZN12_GLOBAL__N_17runRingIa7FuncSumIaE11ProtoSimpleILi2ELi2ELi0ELi2ELi0ELi0EELi0ELi2ELi0ELb0EEEviiP15ncclDevWorkColl: ; @_ZN12_GLOBAL__N_17runRingIa7FuncSumIaE11ProtoSimpleILi2ELi2ELi0ELi2ELi0ELi0EELi0ELi2ELi0ELb0EEEviiP15ncclDevWorkColl
; %bb.0:
	s_waitcnt vmcnt(0) expcnt(0) lgkmcnt(0)
	s_mov_b32 s4, s33
	s_mov_b32 s33, s32
	s_or_saveexec_b64 s[6:7], -1
	buffer_store_dword v63, off, s[0:3], s33 offset:84 ; 4-byte Folded Spill
	s_mov_b64 exec, s[6:7]
	v_writelane_b32 v63, s4, 46
	s_addk_i32 s32, 0x1800
	buffer_store_dword v40, off, s[0:3], s33 offset:80 ; 4-byte Folded Spill
	buffer_store_dword v41, off, s[0:3], s33 offset:76 ; 4-byte Folded Spill
	;; [unrolled: 1-line block ×20, first 2 shown]
	buffer_store_dword a37, off, s[0:3], s33 ; 4-byte Folded Spill
	v_writelane_b32 v63, s34, 0
	v_writelane_b32 v63, s35, 1
	;; [unrolled: 1-line block ×46, first 2 shown]
	s_trap 2
	flat_load_dword v6, v[2:3]
	flat_load_dwordx4 v[20:23], v[2:3] offset:72
	flat_load_dwordx2 v[12:13], v[2:3] offset:88
	ds_read_b32 v4, v0
	ds_read_b64 a[6:7], v0
	v_mov_b32_e32 v24, v1
	v_mov_b32_e32 v41, v0
                                        ; implicit-def: $vgpr16_vgpr17
                                        ; implicit-def: $agpr8_agpr9
	s_waitcnt lgkmcnt(0)
	v_readfirstlane_b32 s70, v4
	s_waitcnt vmcnt(0)
	v_not_b32_sdwa v5, v6 dst_sel:DWORD dst_unused:UNUSED_PAD src0_sel:BYTE_0
	v_add_u32_sdwa v1, v6, v5 dst_sel:DWORD dst_unused:UNUSED_PAD src0_sel:BYTE_1 src1_sel:DWORD
	v_ashrrev_i32_e32 v7, 31, v1
	v_mul_lo_u32 v8, v23, v1
	v_mad_u64_u32 v[14:15], s[4:5], v22, v1, 0
	v_mul_lo_u32 v1, v22, v7
	v_add3_u32 v1, v15, v1, v8
	v_cmp_ne_u32_sdwa s[4:5], v6, v4 src0_sel:BYTE_0 src1_sel:DWORD
	s_and_saveexec_b64 s[6:7], s[4:5]
	s_xor_b64 s[4:5], exec, s[6:7]
	s_cbranch_execz .LBB10_6
; %bb.1:
	v_cmp_ne_u32_sdwa s[6:7], v6, v4 src0_sel:BYTE_1 src1_sel:DWORD
                                        ; implicit-def: $vgpr16_vgpr17
                                        ; implicit-def: $agpr8_agpr9
	s_and_saveexec_b64 s[10:11], s[6:7]
	s_xor_b64 s[6:7], exec, s[10:11]
	s_cbranch_execz .LBB10_3
; %bb.2:
	flat_load_dwordx2 v[6:7], v[2:3] offset:96
	v_add_u32_e32 v4, v4, v5
	v_ashrrev_i32_e32 v5, 31, v4
	v_mul_lo_u32 v5, v22, v5
	v_mul_lo_u32 v8, v23, v4
	v_mad_u64_u32 v[10:11], s[10:11], v22, v4, v[20:21]
	v_add3_u32 v11, v8, v11, v5
	v_accvgpr_write_b32 a8, v10
	v_accvgpr_write_b32 a9, v11
	s_waitcnt vmcnt(0) lgkmcnt(0)
	v_lshrrev_b64 v[16:17], 21, v[6:7]
.LBB10_3:
	s_andn2_saveexec_b64 s[6:7], s[6:7]
	s_cbranch_execz .LBB10_5
; %bb.4:
	flat_load_dword v4, v[2:3] offset:100
	v_add_co_u32_e32 v6, vcc, v14, v20
	v_addc_co_u32_e32 v7, vcc, v1, v21, vcc
	v_accvgpr_write_b32 a9, v7
	v_accvgpr_write_b32 a8, v6
	v_pk_mov_b32 v[22:23], v[12:13], v[12:13] op_sel:[0,1]
	s_waitcnt vmcnt(0) lgkmcnt(0)
	v_lshrrev_b32_e32 v16, 10, v4
.LBB10_5:
	s_or_b64 exec, exec, s[6:7]
.LBB10_6:
	s_andn2_saveexec_b64 s[4:5], s[4:5]
	s_cbranch_execz .LBB10_8
; %bb.7:
	flat_load_dwordx2 v[16:17], v[2:3] offset:96
	v_pk_mov_b32 v[4:5], 0, 0
	v_accvgpr_write_b32 a9, v5
	v_accvgpr_write_b32 a8, v4
	v_pk_mov_b32 v[22:23], v[20:21], v[20:21] op_sel:[0,1]
.LBB10_8:
	s_or_b64 exec, exec, s[4:5]
	flat_load_dwordx4 v[48:51], v[2:3] offset:16
	v_add_co_u32_e32 v4, vcc, v12, v20
	v_addc_co_u32_e32 v5, vcc, v13, v21, vcc
	v_add_co_u32_e32 v18, vcc, v4, v14
	v_addc_co_u32_e32 v0, vcc, v5, v1, vcc
	v_accvgpr_write_b32 a15, v0
	v_cmp_ge_i32_e32 vcc, v41, v24
	s_and_saveexec_b64 s[4:5], vcc
	s_xor_b64 s[4:5], exec, s[4:5]
	s_cbranch_execz .LBB10_41
; %bb.9:
	v_accvgpr_read_b32 v0, a6
	v_accvgpr_read_b32 v1, a7
	flat_load_dword v1, v[0:1]
	v_accvgpr_read_b32 v2, a15
	s_waitcnt vmcnt(0) lgkmcnt(0)
	v_ashrrev_i32_e32 v0, 31, v1
	v_mul_lo_u32 v2, v2, v1
	v_mul_lo_u32 v3, v18, v0
	v_mad_u64_u32 v[4:5], s[6:7], v18, v1, v[48:49]
	v_add3_u32 v5, v2, v5, v3
	v_cmp_ne_u64_e32 vcc, v[50:51], v[4:5]
	s_and_saveexec_b64 s[6:7], vcc
	s_cbranch_execz .LBB10_40
; %bb.10:
	v_mad_u64_u32 v[4:5], s[10:11], v18, v1, 0
	v_add3_u32 v0, v5, v3, v2
	v_accvgpr_read_b32 v2, a8
	v_accvgpr_read_b32 v3, a9
	v_add_co_u32_e32 v16, vcc, v50, v2
	v_addc_co_u32_e32 v17, vcc, v51, v3, vcc
	v_add_co_u32_e32 v1, vcc, v48, v2
	v_addc_co_u32_e32 v2, vcc, v49, v3, vcc
	v_add_co_u32_e32 v18, vcc, v1, v4
	v_sub_u32_e32 v1, v41, v24
	v_addc_co_u32_e32 v19, vcc, v2, v0, vcc
	v_ashrrev_i32_e32 v0, 31, v1
	v_lshrrev_b32_e32 v0, 26, v0
	v_add_u32_e32 v0, v1, v0
	v_and_b32_e32 v2, 0xffffffc0, v0
	v_sub_u32_e32 v20, v1, v2
	v_cmp_gt_i32_e32 vcc, 1, v20
	v_mov_b32_e32 v1, 0
	s_and_saveexec_b64 s[10:11], vcc
; %bb.11:
	v_or_b32_e32 v1, v16, v18
	v_and_b32_e32 v1, 15, v1
	v_cmp_ne_u32_e32 vcc, 0, v1
	v_cndmask_b32_e64 v1, 0, 1, vcc
; %bb.12:
	s_or_b64 exec, exec, s[10:11]
	v_ashrrev_i32_e32 v21, 6, v0
	;;#ASMSTART
	;;#ASMEND
	v_cmp_ne_u32_e32 vcc, 0, v1
	s_cbranch_vccz .LBB10_14
; %bb.13:
	s_mov_b64 s[18:19], -1
	s_mov_b64 s[14:15], 0
	v_pk_mov_b32 v[4:5], 0, 0
	s_mov_b64 s[10:11], 0
                                        ; implicit-def: $vgpr2_vgpr3
                                        ; implicit-def: $vgpr0_vgpr1
	v_mov_b32_e32 v6, v20
	v_mov_b32_e32 v7, v21
	s_and_saveexec_b64 s[16:17], s[18:19]
	s_cbranch_execnz .LBB10_25
	s_branch .LBB10_34
.LBB10_14:
	v_ashrrev_i32_e32 v0, 31, v23
	v_lshrrev_b32_e32 v0, 21, v0
	v_add_co_u32_e32 v0, vcc, v22, v0
	v_addc_co_u32_e32 v1, vcc, 0, v23, vcc
	v_ashrrev_i64 v[8:9], 11, v[0:1]
	v_ashrrev_i32_e32 v0, 31, v21
	v_sub_co_u32_e32 v12, vcc, v8, v21
	v_subb_co_u32_e32 v13, vcc, v9, v0, vcc
	v_cmp_gt_i64_e32 vcc, 1, v[12:13]
	s_mov_b64 s[18:19], 0
	s_mov_b64 s[10:11], -1
	v_pk_mov_b32 v[4:5], 0, 0
	s_mov_b64 s[14:15], 0
                                        ; implicit-def: $vgpr2_vgpr3
                                        ; implicit-def: $vgpr0_vgpr1
                                        ; implicit-def: $vgpr6
                                        ; implicit-def: $vgpr7
	s_and_saveexec_b64 s[16:17], vcc
	s_cbranch_execz .LBB10_24
; %bb.15:
	v_lshlrev_b64 v[0:1], 11, v[8:9]
	v_cmp_ne_u64_e32 vcc, v[22:23], v[0:1]
	v_pk_mov_b32 v[4:5], 0, 0
                                        ; implicit-def: $vgpr2_vgpr3
                                        ; implicit-def: $vgpr6
                                        ; implicit-def: $vgpr7
	s_and_saveexec_b64 s[10:11], vcc
	s_cbranch_execz .LBB10_23
; %bb.16:
	v_sub_co_u32_e32 v4, vcc, v22, v0
	v_subb_co_u32_e32 v5, vcc, v23, v1, vcc
	v_ashrrev_i32_e32 v2, 31, v5
	v_lshrrev_b32_e32 v2, 22, v2
	v_add_co_u32_e32 v6, vcc, v4, v2
	v_addc_co_u32_e32 v7, vcc, 0, v5, vcc
	v_and_b32_e32 v2, 0xfffffc00, v6
	v_add_co_u32_e32 v10, vcc, v2, v0
	v_addc_co_u32_e32 v11, vcc, v7, v1, vcc
	v_sub_co_u32_e32 v8, vcc, v4, v2
	v_subb_co_u32_e32 v9, vcc, v5, v7, vcc
	v_mov_b32_e32 v3, 0
	v_ashrrev_i64 v[14:15], 10, v[6:7]
	v_cmp_lt_i64_e32 vcc, 15, v[8:9]
	s_and_saveexec_b64 s[14:15], vcc
; %bb.17:
	v_add_co_u32_e32 v14, vcc, 1, v14
	v_and_b32_e32 v2, 15, v22
	v_sub_co_u32_e32 v6, vcc, v8, v2
	v_subbrev_co_u32_e32 v7, vcc, 0, v9, vcc
	v_add_co_u32_e32 v10, vcc, v6, v10
	v_addc_co_u32_e32 v11, vcc, v7, v11, vcc
	v_pk_mov_b32 v[8:9], v[2:3], v[2:3] op_sel:[0,1]
; %bb.18:
	s_or_b64 exec, exec, s[14:15]
	v_lshlrev_b32_e32 v2, 6, v12
	v_sub_u32_e32 v2, v20, v2
	v_ashrrev_i32_e32 v3, 31, v2
	v_lshrrev_b32_e32 v3, 26, v3
	v_add_u32_e32 v3, v2, v3
	v_ashrrev_i32_e32 v12, 6, v3
	v_and_b32_e32 v3, 0xffffffc0, v3
	v_sub_u32_e32 v13, v2, v3
	v_lshlrev_b32_e32 v2, 4, v13
	v_lshl_add_u32 v2, v12, 10, v2
	v_ashrrev_i32_e32 v3, 31, v2
	v_sub_co_u32_e32 v4, vcc, v4, v2
	v_subb_co_u32_e32 v5, vcc, v5, v3, vcc
	v_cmp_gt_i64_e32 vcc, 16, v[4:5]
	s_mov_b64 s[20:21], -1
	v_pk_mov_b32 v[4:5], 0, 0
                                        ; implicit-def: $vgpr22_vgpr23
                                        ; implicit-def: $vgpr6
                                        ; implicit-def: $vgpr7
	s_and_saveexec_b64 s[14:15], vcc
	s_cbranch_execz .LBB10_22
; %bb.19:
	v_cmp_ne_u64_e32 vcc, 0, v[8:9]
	v_pk_mov_b32 v[4:5], 0, 0
                                        ; implicit-def: $vgpr6
                                        ; implicit-def: $vgpr7
	s_and_saveexec_b64 s[20:21], vcc
; %bb.20:
	v_sub_u32_e32 v4, v12, v14
	v_lshl_add_u32 v4, v4, 6, v13
	v_ashrrev_i32_e32 v5, 31, v4
	v_lshrrev_b32_e32 v5, 26, v5
	v_add_u32_e32 v5, v4, v5
	v_and_b32_e32 v6, 0xffffffc0, v5
	s_mov_b64 s[18:19], exec
	v_sub_u32_e32 v6, v4, v6
	v_ashrrev_i32_e32 v7, 6, v5
	v_pk_mov_b32 v[4:5], v[10:11], v[10:11] op_sel:[0,1]
; %bb.21:
	s_or_b64 exec, exec, s[20:21]
	s_xor_b64 s[20:21], exec, -1
	s_and_b64 s[18:19], s[18:19], exec
	v_pk_mov_b32 v[22:23], v[8:9], v[8:9] op_sel:[0,1]
.LBB10_22:
	s_or_b64 exec, exec, s[14:15]
	s_and_b64 s[14:15], s[20:21], exec
	s_and_b64 s[18:19], s[18:19], exec
.LBB10_23:
	s_or_b64 exec, exec, s[10:11]
	s_xor_b64 s[10:11], exec, -1
	s_and_b64 s[14:15], s[14:15], exec
	s_and_b64 s[18:19], s[18:19], exec
.LBB10_24:
	s_or_b64 exec, exec, s[16:17]
	s_and_saveexec_b64 s[16:17], s[18:19]
	s_cbranch_execz .LBB10_34
.LBB10_25:
	v_ashrrev_i32_e32 v8, 31, v23
	v_lshrrev_b32_e32 v8, 22, v8
	v_add_co_u32_e32 v8, vcc, v22, v8
	v_addc_co_u32_e32 v9, vcc, 0, v23, vcc
	v_ashrrev_i64 v[10:11], 10, v[8:9]
	v_ashrrev_i32_e32 v9, 31, v7
	v_sub_co_u32_e32 v8, vcc, v10, v7
	v_subb_co_u32_e32 v9, vcc, v11, v9, vcc
	v_cmp_gt_i64_e32 vcc, 1, v[8:9]
	s_and_saveexec_b64 s[18:19], vcc
	s_xor_b64 s[18:19], exec, s[18:19]
	s_cbranch_execz .LBB10_31
; %bb.26:
	v_lshlrev_b64 v[10:11], 10, v[10:11]
	v_cmp_ne_u64_e32 vcc, v[22:23], v[10:11]
	s_and_saveexec_b64 s[20:21], vcc
	s_cbranch_execz .LBB10_30
; %bb.27:
	v_lshlrev_b32_e32 v7, 6, v8
	v_sub_co_u32_e32 v12, vcc, v22, v10
	v_sub_u32_e32 v6, v6, v7
	v_subb_co_u32_e32 v13, vcc, v23, v11, vcc
	v_ashrrev_i32_e32 v7, 31, v6
	v_cmp_gt_i64_e32 vcc, v[12:13], v[6:7]
	s_and_b64 exec, exec, vcc
	s_cbranch_execz .LBB10_30
; %bb.28:
	v_add_co_u32_e32 v4, vcc, v10, v4
	v_addc_co_u32_e32 v5, vcc, v11, v5, vcc
	v_add_co_u32_e32 v6, vcc, v4, v6
	v_addc_co_u32_e32 v7, vcc, v5, v7, vcc
	;; [unrolled: 2-line block ×3, first 2 shown]
	flat_load_ubyte v8, v[4:5]
	v_add_co_u32_e32 v4, vcc, v6, v18
	v_addc_co_u32_e32 v5, vcc, v7, v19, vcc
	s_and_b64 vcc, exec, -1
	s_waitcnt vmcnt(0) lgkmcnt(0)
	flat_store_byte v[4:5], v8 glc slc
.LBB10_29:                              ; =>This Inner Loop Header: Depth=1
	s_mov_b64 vcc, vcc
	s_cbranch_vccnz .LBB10_29
.LBB10_30:
	s_or_b64 exec, exec, s[20:21]
                                        ; implicit-def: $vgpr7
                                        ; implicit-def: $vgpr6
                                        ; implicit-def: $vgpr4_vgpr5
.LBB10_31:
	s_andn2_saveexec_b64 s[18:19], s[18:19]
	s_cbranch_execz .LBB10_34
; %bb.32:
	v_lshl_add_u32 v6, v7, 10, v6
	v_ashrrev_i32_e32 v7, 31, v6
	v_add_co_u32_e32 v6, vcc, v4, v6
	v_addc_co_u32_e32 v7, vcc, v5, v7, vcc
	v_add_co_u32_e32 v4, vcc, v6, v18
	v_addc_co_u32_e32 v5, vcc, v7, v19, vcc
	;; [unrolled: 2-line block ×3, first 2 shown]
	s_and_b64 vcc, exec, 0
.LBB10_33:                              ; =>This Inner Loop Header: Depth=1
	flat_load_ubyte v8, v[6:7] glc slc
	flat_load_ubyte v9, v[6:7] offset:64 glc slc
	flat_load_ubyte v10, v[6:7] offset:128 glc slc
	;; [unrolled: 1-line block ×15, first 2 shown]
	s_waitcnt vmcnt(0) lgkmcnt(0)
	flat_store_byte v[4:5], v8 glc slc
	flat_store_byte v[4:5], v9 offset:64 glc slc
	flat_store_byte v[4:5], v10 offset:128 glc slc
	;; [unrolled: 1-line block ×15, first 2 shown]
	s_mov_b64 vcc, vcc
	s_cbranch_vccz .LBB10_33
.LBB10_34:
	s_or_b64 exec, exec, s[16:17]
	s_and_saveexec_b64 s[16:17], s[14:15]
	s_cbranch_execz .LBB10_37
; %bb.35:
	v_add_co_u32_e32 v2, vcc, v0, v2
	v_addc_co_u32_e32 v3, vcc, v1, v3, vcc
	v_add_co_u32_e32 v0, vcc, v2, v18
	v_addc_co_u32_e32 v1, vcc, v3, v19, vcc
	;; [unrolled: 2-line block ×3, first 2 shown]
	s_and_b64 vcc, exec, 0
.LBB10_36:                              ; =>This Inner Loop Header: Depth=1
	global_load_dwordx4 v[4:7], v[2:3], off glc slc
	s_waitcnt vmcnt(0)
	global_store_dwordx4 v[0:1], v[4:7], off glc slc
	s_mov_b64 vcc, vcc
	s_cbranch_vccz .LBB10_36
.LBB10_37:
	s_or_b64 exec, exec, s[16:17]
	s_and_saveexec_b64 s[14:15], s[10:11]
	s_xor_b64 s[14:15], exec, s[14:15]
	s_cbranch_execz .LBB10_40
; %bb.38:
	v_lshlrev_b32_e32 v0, 4, v20
	v_lshl_add_u32 v2, v21, 11, v0
	v_ashrrev_i32_e32 v3, 31, v2
	v_add_co_u32_e32 v0, vcc, v18, v2
	v_addc_co_u32_e32 v1, vcc, v19, v3, vcc
	v_add_co_u32_e32 v2, vcc, v16, v2
	v_addc_co_u32_e32 v3, vcc, v17, v3, vcc
	s_and_b64 vcc, exec, 0
.LBB10_39:                              ; =>This Inner Loop Header: Depth=1
	global_load_dwordx4 v[4:7], v[2:3], off glc slc
	global_load_dwordx4 v[8:11], v[2:3], off offset:1024 glc slc
	s_waitcnt vmcnt(0)
	global_store_dwordx4 v[0:1], v[4:7], off glc slc
	global_store_dwordx4 v[0:1], v[8:11], off offset:1024 glc slc
	s_mov_b64 vcc, vcc
	s_cbranch_vccz .LBB10_39
.LBB10_40:
	s_or_b64 exec, exec, s[6:7]
                                        ; implicit-def: $vgpr22_vgpr23
                                        ; implicit-def: $agpr8_agpr9
                                        ; implicit-def: $vgpr16_vgpr17
                                        ; implicit-def: $vgpr48_vgpr49
                                        ; implicit-def: $vgpr41
                                        ; implicit-def: $vgpr24
                                        ; implicit-def: $agpr6_agpr7
                                        ; implicit-def: $vgpr31
                                        ; implicit-def: $vgpr2_vgpr3
                                        ; implicit-def: $vgpr18
                                        ; implicit-def: $agpr15
.LBB10_41:
	s_andn2_saveexec_b64 s[38:39], s[4:5]
	s_cbranch_execz .LBB10_1054
; %bb.42:
	s_trap 2
	ds_read_b64 v[4:5], v0
	s_waitcnt lgkmcnt(0)
	v_cmp_ne_u32_e32 vcc, -1, v4
	v_cndmask_b32_e64 v7, 0, 1, vcc
	v_cmp_ne_u32_e32 vcc, -1, v5
	v_addc_co_u32_e64 v1, s[4:5], 0, v7, vcc
	v_lshlrev_b32_e32 v4, 1, v1
	v_cmp_le_i32_e64 s[4:5], v4, v24
	s_and_saveexec_b64 s[6:7], s[4:5]
	s_xor_b64 s[40:41], exec, s[6:7]
	s_cbranch_execz .LBB10_1051
; %bb.43:
	flat_load_dwordx2 v[4:5], v[2:3] offset:104
	flat_load_ushort v13, v[2:3] offset:8
	flat_load_dword v12, v[2:3] offset:4
	s_trap 2
	s_load_dword s4, s[8:9], 0x0
	v_mov_b32_e32 v6, 0
	v_mov_b32_e32 v62, 4
	s_waitcnt lgkmcnt(0)
	s_cmp_lt_u32 s12, s4
	s_cselect_b32 s4, 12, 18
	s_add_u32 s4, s8, s4
	s_addc_u32 s5, s9, 0
	global_load_ushort v17, v6, s[4:5]
	ds_read_b32 v6, v0
	v_cmp_ge_i32_e64 s[4:5], v41, v7
	s_waitcnt lgkmcnt(0)
	v_readfirstlane_b32 s18, v6
	s_and_saveexec_b64 s[6:7], s[4:5]
	s_cbranch_execz .LBB10_53
; %bb.44:
	v_cmp_le_u32_e64 s[4:5], v1, v41
                                        ; implicit-def: $vgpr62
	s_and_saveexec_b64 s[10:11], s[4:5]
	s_xor_b64 s[4:5], exec, s[10:11]
	s_cbranch_execz .LBB10_50
; %bb.45:
	v_cndmask_b32_e64 v6, 0, 1, vcc
	v_sub_u32_e32 v6, v24, v6
	v_cmp_ge_u32_e32 vcc, v41, v6
                                        ; implicit-def: $sgpr12
	s_and_saveexec_b64 s[10:11], vcc
	s_xor_b64 s[10:11], exec, s[10:11]
; %bb.46:
	s_mov_b32 s12, 16
                                        ; implicit-def: $vgpr1
; %bb.47:
	s_or_saveexec_b64 s[10:11], s[10:11]
	v_mov_b32_e32 v62, s12
	s_xor_b64 exec, exec, s[10:11]
; %bb.48:
	v_sub_u32_e32 v1, v24, v1
	v_cmp_ge_i32_e32 vcc, v41, v1
	v_cndmask_b32_e64 v1, 0, 1, vcc
	v_lshlrev_b32_e32 v62, 5, v1
; %bb.49:
	s_or_b64 exec, exec, s[10:11]
.LBB10_50:
	s_andn2_saveexec_b64 s[4:5], s[4:5]
; %bb.51:
	v_mov_b32_e32 v62, 8
; %bb.52:
	s_or_b64 exec, exec, s[4:5]
.LBB10_53:
	s_or_b64 exec, exec, s[6:7]
	v_and_b32_e32 v1, 36, v62
	v_cmp_ne_u32_e32 vcc, 0, v1
	v_mov_b32_e32 v14, -1
	s_and_saveexec_b64 s[4:5], vcc
	s_cbranch_execz .LBB10_55
; %bb.54:
	s_trap 2
	ds_read_b32 v14, v0
.LBB10_55:
	s_or_b64 exec, exec, s[4:5]
	v_and_b32_e32 v1, 24, v62
	v_cmp_ne_u32_e64 s[4:5], 0, v1
	s_and_saveexec_b64 s[6:7], s[4:5]
	s_cbranch_execz .LBB10_57
; %bb.56:
	s_trap 2
	s_waitcnt lgkmcnt(0)
	ds_read_b32 v14, v0
.LBB10_57:
	s_or_b64 exec, exec, s[6:7]
	s_waitcnt vmcnt(0)
	v_lshrrev_b64 v[8:9], 31, v[12:13]
	v_pk_mov_b32 v[20:21], 0, 0
	v_and_b32_e32 v1, 3, v8
	v_pk_mov_b32 v[12:13], v[20:21], v[20:21] op_sel:[0,1]
                                        ; implicit-def: $agpr16_agpr17
                                        ; implicit-def: $vgpr30
                                        ; implicit-def: $vgpr26_vgpr27
                                        ; implicit-def: $vgpr32_vgpr33
                                        ; implicit-def: $vgpr38_vgpr39
                                        ; implicit-def: $vgpr28_vgpr29
	s_and_saveexec_b64 s[4:5], vcc
	s_cbranch_execz .LBB10_67
; %bb.58:
	s_trap 2
	ds_read_b64 v[8:9], v0
	s_waitcnt lgkmcnt(1)
	v_ashrrev_i32_e32 v15, 31, v14
	v_lshlrev_b64 v[10:11], 3, v[14:15]
	v_and_b32_e32 v6, 0xffff, v1
	s_movk_i32 s6, 0xa8
	s_waitcnt lgkmcnt(0)
	v_add_co_u32_e32 v8, vcc, v8, v10
	v_addc_co_u32_e32 v9, vcc, v9, v11, vcc
	flat_load_dwordx2 v[8:9], v[8:9]
                                        ; implicit-def: $agpr16_agpr17
	s_waitcnt vmcnt(0) lgkmcnt(0)
	v_mad_u64_u32 v[8:9], s[6:7], v6, s6, v[8:9]
	flat_load_dword v6, v[8:9] offset:640
	v_add_co_u32_e32 v20, vcc, 0x1f8, v8
	v_addc_co_u32_e32 v21, vcc, 0, v9, vcc
	s_waitcnt vmcnt(0) lgkmcnt(0)
	v_cmp_eq_u32_e32 vcc, 1, v6
	s_and_saveexec_b64 s[6:7], vcc
	s_cbranch_execz .LBB10_60
; %bb.59:
	flat_load_dwordx2 v[10:11], v[20:21] offset:144
	v_or_b32_e32 v62, 0x2000, v62
	s_waitcnt vmcnt(0) lgkmcnt(0)
	flat_load_dwordx2 v[8:9], v[10:11]
	s_trap 2
	v_accvgpr_write_b32 a17, v11
	v_accvgpr_write_b32 a16, v10
	s_waitcnt vmcnt(0) lgkmcnt(0)
	ds_write_b64 v0, v[8:9]
	flat_load_dwordx2 v[8:9], v[10:11] offset:8
	s_waitcnt vmcnt(0) lgkmcnt(0)
	ds_write_b64 v0, v[8:9]
	flat_load_dwordx2 v[8:9], v[10:11] offset:16
	s_waitcnt vmcnt(0) lgkmcnt(0)
	ds_write_b64 v0, v[8:9]
.LBB10_60:
	s_or_b64 exec, exec, s[6:7]
	flat_load_dwordx2 v[8:9], v[20:21] offset:104
	v_and_b32_e32 v6, 32, v62
                                        ; implicit-def: $vgpr28_vgpr29
	s_waitcnt vmcnt(0) lgkmcnt(0)
	v_add_co_u32_e32 v8, vcc, 3, v8
	v_addc_co_u32_e32 v27, vcc, 0, v9, vcc
	v_and_b32_e32 v26, -4, v8
	v_cmp_ne_u32_e32 vcc, 0, v6
	s_and_saveexec_b64 s[6:7], vcc
	s_cbranch_execz .LBB10_62
; %bb.61:
	flat_load_dwordx2 v[28:29], v[20:21] offset:56
	s_waitcnt vmcnt(0) lgkmcnt(0)
	flat_store_dwordx2 v[28:29], v[26:27]
.LBB10_62:
	s_or_b64 exec, exec, s[6:7]
	v_and_b32_e32 v6, 4, v62
	v_cmp_ne_u32_e32 vcc, 0, v6
	v_pk_mov_b32 v[12:13], 0, 0
                                        ; implicit-def: $vgpr30
                                        ; implicit-def: $vgpr32_vgpr33
                                        ; implicit-def: $vgpr38_vgpr39
	s_and_saveexec_b64 s[6:7], vcc
	s_cbranch_execz .LBB10_66
; %bb.63:
	v_and_b32_e32 v6, 0x800, v62
	v_cmp_eq_u32_e32 vcc, 0, v6
	s_and_saveexec_b64 s[10:11], vcc
	s_cbranch_execz .LBB10_65
; %bb.64:
	s_trap 2
	ds_write_b64 v0, v[20:21]
.LBB10_65:
	s_or_b64 exec, exec, s[10:11]
	flat_load_dwordx2 v[28:29], v[20:21] offset:48
	v_or_b32_e32 v6, 0x100, v62
	s_waitcnt vmcnt(0) lgkmcnt(0)
	flat_load_dwordx2 v[38:39], v[28:29] glc
	flat_load_dwordx2 v[12:13], v[20:21] offset:96
	flat_load_dword v30, v[20:21] offset:72
	flat_load_dwordx2 v[32:33], v[20:21] offset:16
	s_waitcnt vmcnt(0) lgkmcnt(0)
	v_cmp_eq_u64_e32 vcc, 0, v[12:13]
	v_cndmask_b32_e32 v62, v6, v62, vcc
.LBB10_66:
	s_or_b64 exec, exec, s[6:7]
.LBB10_67:
	s_or_b64 exec, exec, s[4:5]
	v_and_b32_e32 v6, 24, v62
	v_cmp_ne_u32_e32 vcc, 0, v6
                                        ; implicit-def: $vgpr36_vgpr37
	s_and_saveexec_b64 s[4:5], vcc
	s_cbranch_execz .LBB10_75
; %bb.68:
	s_trap 2
	ds_read_b64 v[8:9], v0
	s_waitcnt lgkmcnt(0)
	v_ashrrev_i32_e32 v15, 31, v14
	v_lshlrev_b64 v[10:11], 3, v[14:15]
	v_and_b32_e32 v1, 0xffff, v1
	s_movk_i32 s6, 0xa8
	v_add_co_u32_e32 v8, vcc, v8, v10
	v_addc_co_u32_e32 v9, vcc, v9, v11, vcc
	flat_load_dwordx2 v[8:9], v[8:9]
                                        ; implicit-def: $vgpr36_vgpr37
	s_waitcnt vmcnt(0) lgkmcnt(0)
	v_mad_u64_u32 v[20:21], s[6:7], v1, s6, v[8:9]
	flat_load_dwordx4 v[12:15], v[20:21] offset:96
	v_or_b32_e32 v1, 0x100, v62
	s_waitcnt vmcnt(0) lgkmcnt(0)
	v_cmp_eq_u64_e32 vcc, 0, v[12:13]
	v_cndmask_b32_e32 v62, v1, v62, vcc
	v_and_b32_e32 v1, 16, v62
	v_cmp_ne_u32_e32 vcc, 0, v1
	s_and_saveexec_b64 s[6:7], vcc
	s_cbranch_execz .LBB10_70
; %bb.69:
	flat_load_dwordx2 v[36:37], v[20:21] offset:120
	flat_load_dwordx2 v[28:29], v[20:21] offset:48
	;; [unrolled: 1-line block ×3, first 2 shown]
.LBB10_70:
	s_or_b64 exec, exec, s[6:7]
	v_add_co_u32_e32 v1, vcc, 3, v14
	v_addc_co_u32_e32 v27, vcc, 0, v15, vcc
	v_and_b32_e32 v26, -4, v1
	v_and_b32_e32 v1, 8, v62
	v_cmp_ne_u32_e32 vcc, 0, v1
	s_and_saveexec_b64 s[6:7], vcc
	s_cbranch_execz .LBB10_74
; %bb.71:
	v_and_b32_e32 v1, 0x800, v62
	v_cmp_eq_u32_e32 vcc, 0, v1
	s_and_saveexec_b64 s[10:11], vcc
	s_cbranch_execz .LBB10_73
; %bb.72:
	s_trap 2
	ds_write_b64 v0, v[20:21]
.LBB10_73:
	s_or_b64 exec, exec, s[10:11]
	s_waitcnt vmcnt(0) lgkmcnt(0)
	flat_load_dwordx2 v[28:29], v[20:21] offset:56
	s_waitcnt vmcnt(0) lgkmcnt(0)
	flat_load_dwordx2 v[38:39], v[28:29] glc
	flat_load_dword v30, v[20:21] offset:72
	flat_load_dwordx2 v[32:33], v[20:21] offset:16
.LBB10_74:
	s_or_b64 exec, exec, s[6:7]
.LBB10_75:
	s_or_b64 exec, exec, s[4:5]
	v_cmp_eq_u32_e64 s[4:5], 0, v41
	s_and_saveexec_b64 s[6:7], s[4:5]
	s_cbranch_execz .LBB10_77
; %bb.76:
	flat_load_dwordx2 v[8:9], v[2:3] offset:32
	v_mov_b32_e32 v10, v50
	v_mov_b32_e32 v11, v51
	s_waitcnt lgkmcnt(0)
	v_mov_b32_e32 v14, v48
	v_mov_b32_e32 v15, v49
	ds_write2_b64 v0, v[10:11], v[14:15] offset1:1
	s_trap 2
	s_waitcnt vmcnt(0)
	ds_write_b64 v0, v[8:9]
	ds_write_b64 v0, v[4:5]
.LBB10_77:
	s_or_b64 exec, exec, s[6:7]
	s_mov_b64 s[44:45], 0
	v_cmp_ne_u64_e32 vcc, 0, v[22:23]
	v_pk_mov_b32 v[34:35], 0, 0
	s_and_saveexec_b64 s[42:43], vcc
	s_cbranch_execz .LBB10_1015
; %bb.78:
	flat_load_dword v1, v[2:3] offset:4
	v_lshlrev_b32_e32 v4, 9, v16
	v_accvgpr_write_b32 a10, v48
	v_cvt_f64_u32_e32 v[2:3], 0
	s_ashr_i32 s16, s18, 31
	v_and_b32_e32 v5, 63, v31
	v_ashrrev_i32_e32 v6, 31, v41
	v_and_b32_e32 v0, 0x3ffffe00, v4
	v_accvgpr_write_b32 a11, v49
	v_accvgpr_write_b32 a12, v50
	;; [unrolled: 1-line block ×3, first 2 shown]
	v_lshrrev_b32_e32 v50, 6, v24
	v_mov_b32_e32 v8, 0xfffff800
	v_ldexp_f64 v[2:3], v[2:3], 32
	s_lshr_b32 s21, s16, 25
	v_cmp_eq_u32_e64 s[16:17], 0, v5
	v_lshrrev_b32_e32 v6, 26, v6
	v_cvt_f64_u32_e32 v[4:5], v0
	v_accvgpr_write_b32 a18, v20
	s_movk_i32 s19, 0x800
	v_lshl_add_u32 v8, v50, 11, v8
	v_add_u32_e32 v6, v41, v6
	v_add_f64 v[2:3], v[2:3], v[4:5]
	v_accvgpr_write_b32 a19, v21
	v_and_b32_e32 v25, 0xffffffc0, v24
	v_ashrrev_i32_e32 v9, 31, v8
	v_ashrrev_i32_e32 v53, 6, v6
	v_and_b32_e32 v4, 0xffffffc0, v6
	v_add_co_u32_e32 v20, vcc, s19, v8
	v_max_f64 v[2:3], v[2:3], v[2:3]
	v_subrev_u32_e32 v40, 64, v25
	v_accvgpr_write_b32 a20, v0
	v_addc_co_u32_e32 v21, vcc, 0, v9, vcc
	v_sub_u32_e32 v0, v41, v4
	v_lshlrev_b32_e32 v4, 11, v53
	v_accvgpr_write_b32 a31, v3
	v_lshlrev_b32_e32 v51, 10, v50
	s_add_i32 s18, s18, s21
	v_ashrrev_i32_e32 v55, 31, v40
	v_add_co_u32_e32 v8, vcc, 64, v40
	v_accvgpr_write_b32 a30, v2
	v_lshl_add_u32 v2, v0, 4, v4
	s_movk_i32 s20, 0x400
	v_add_u32_e32 v54, 0xfffffc00, v51
	s_ashr_i32 s74, s18, 7
	v_addc_co_u32_e32 v9, vcc, 0, v55, vcc
	v_ashrrev_i32_e32 v3, 31, v2
	s_waitcnt vmcnt(0) lgkmcnt(0)
	v_ashrrev_i32_e32 v43, 31, v30
	v_pk_mov_b32 v[14:15], 0, 0
	v_ashrrev_i32_e32 v57, 31, v54
	v_add_co_u32_e32 v11, vcc, s20, v54
	s_cmp_gt_i32 s70, 2
	v_accvgpr_write_b32 a33, v3
	v_accvgpr_write_b32 a14, v18
	v_mov_b32_e32 v49, 0
	v_accvgpr_write_b32 a1, v31
	v_cmp_eq_u32_e64 s[6:7], 64, v24
	v_cmp_ne_u32_e64 s[10:11], 64, v24
	v_accvgpr_write_b32 a5, v17
	v_cmp_ne_u32_sdwa s[46:47], v17, v24 src0_sel:WORD_0 src1_sel:DWORD
	s_movk_i32 s71, 0xffc0
	v_accvgpr_write_b32 a0, v24
	v_cmp_eq_u64_e64 s[12:13], 0, v[36:37]
	v_cmp_ne_u64_e64 s[14:15], 0, v[36:37]
	s_movk_i32 s72, 0x270e
	v_mov_b32_e32 v42, 1
	s_movk_i32 s73, 0x108
	v_addc_co_u32_e32 v6, vcc, 0, v57, vcc
	v_cmp_gt_i32_e64 s[18:19], 1, v0
	v_cmp_le_i32_e64 s[20:21], v0, v7
	v_accvgpr_write_b32 a28, v0
	v_cmp_lt_i32_e64 s[22:23], v0, v7
	s_cselect_b64 s[48:49], -1, 0
	s_add_i32 s75, s70, -2
	v_and_b32_e32 v1, 1, v1
	v_cmp_eq_u32_e64 s[24:25], 1, v1
	v_accvgpr_write_b32 a32, v2
	v_pk_mov_b32 v[0:1], v[14:15], v[14:15] op_sel:[0,1]
	s_xor_b64 s[50:51], s[24:25], -1
	v_pk_mov_b32 v[34:35], v[14:15], v[14:15] op_sel:[0,1]
	v_accvgpr_write_b32 a21, v43
	v_accvgpr_write_b32 a24, v51
	;; [unrolled: 1-line block ×5, first 2 shown]
	s_trap 2
	s_branch .LBB10_81
.LBB10_79:                              ;   in Loop: Header=BB10_81 Depth=1
	s_or_b64 exec, exec, s[30:31]
.LBB10_80:                              ;   in Loop: Header=BB10_81 Depth=1
	s_or_b64 exec, exec, s[28:29]
	v_accvgpr_read_b32 v0, a22
	v_accvgpr_read_b32 v2, a20
	;; [unrolled: 1-line block ×3, first 2 shown]
	v_add_co_u32_e32 v0, vcc, v0, v2
	v_accvgpr_read_b32 v23, a3
	v_addc_co_u32_e32 v1, vcc, 0, v1, vcc
	v_accvgpr_read_b32 v22, a2
	v_cmp_ge_u64_e32 vcc, v[0:1], v[22:23]
	s_or_b64 s[44:45], vcc, s[44:45]
	s_andn2_b64 exec, exec, s[44:45]
	s_cbranch_execz .LBB10_1014
.LBB10_81:                              ; =>This Loop Header: Depth=1
                                        ;     Child Loop BB10_86 Depth 2
                                        ;       Child Loop BB10_94 Depth 3
                                        ;       Child Loop BB10_118 Depth 3
                                        ;       Child Loop BB10_137 Depth 3
                                        ;       Child Loop BB10_205 Depth 3
                                        ;       Child Loop BB10_210 Depth 3
                                        ;       Child Loop BB10_218 Depth 3
                                        ;       Child Loop BB10_223 Depth 3
                                        ;       Child Loop BB10_172 Depth 3
                                        ;       Child Loop BB10_177 Depth 3
                                        ;         Child Loop BB10_178 Depth 4
                                        ;       Child Loop BB10_187 Depth 3
                                        ;       Child Loop BB10_192 Depth 3
                                        ;         Child Loop BB10_193 Depth 4
                                        ;       Child Loop BB10_165 Depth 3
                                        ;       Child Loop BB10_245 Depth 3
                                        ;     Child Loop BB10_405 Depth 2
                                        ;       Child Loop BB10_411 Depth 3
                                        ;       Child Loop BB10_435 Depth 3
	;; [unrolled: 1-line block ×3, first 2 shown]
                                        ;     Child Loop BB10_263 Depth 2
                                        ;       Child Loop BB10_271 Depth 3
                                        ;       Child Loop BB10_295 Depth 3
	;; [unrolled: 1-line block ×9, first 2 shown]
                                        ;     Child Loop BB10_477 Depth 2
                                        ;       Child Loop BB10_483 Depth 3
                                        ;       Child Loop BB10_507 Depth 3
	;; [unrolled: 1-line block ×3, first 2 shown]
                                        ;     Child Loop BB10_550 Depth 2
                                        ;       Child Loop BB10_553 Depth 3
                                        ;         Child Loop BB10_561 Depth 4
                                        ;         Child Loop BB10_587 Depth 4
	;; [unrolled: 1-line block ×9, first 2 shown]
                                        ;           Child Loop BB10_647 Depth 5
                                        ;         Child Loop BB10_656 Depth 4
                                        ;         Child Loop BB10_661 Depth 4
                                        ;           Child Loop BB10_662 Depth 5
                                        ;         Child Loop BB10_634 Depth 4
                                        ;         Child Loop BB10_713 Depth 4
                                        ;       Child Loop BB10_731 Depth 3
                                        ;         Child Loop BB10_737 Depth 4
                                        ;         Child Loop BB10_775 Depth 4
	;; [unrolled: 1-line block ×3, first 2 shown]
                                        ;     Child Loop BB10_808 Depth 2
                                        ;       Child Loop BB10_816 Depth 3
                                        ;       Child Loop BB10_840 Depth 3
	;; [unrolled: 1-line block ×9, first 2 shown]
                                        ;     Child Loop BB10_948 Depth 2
                                        ;       Child Loop BB10_954 Depth 3
                                        ;       Child Loop BB10_978 Depth 3
	;; [unrolled: 1-line block ×3, first 2 shown]
	v_pk_mov_b32 v[14:15], v[0:1], v[0:1] op_sel:[0,1]
	v_sub_co_u32_e32 v1, vcc, v22, v14
	v_subb_co_u32_e32 v2, vcc, v23, v15, vcc
	v_cvt_f64_u32_e32 v[2:3], v2
	v_ldexp_f64 v[2:3], v[2:3], 32
	v_cvt_f64_u32_e32 v[4:5], v1
	v_accvgpr_read_b32 v0, a30
	v_add_f64 v[2:3], v[2:3], v[4:5]
	v_accvgpr_read_b32 v1, a31
	v_min_f64 v[2:3], v[0:1], v[2:3]
	v_cvt_i32_f64_e32 v1, v[2:3]
	v_accvgpr_read_b32 v2, a8
	v_accvgpr_read_b32 v3, a9
	v_add_co_u32_e32 v18, vcc, v14, v2
	v_addc_co_u32_e32 v19, vcc, v15, v3, vcc
	v_accvgpr_read_b32 v2, a6
	v_accvgpr_read_b32 v3, a7
	flat_load_dword v2, v[2:3]
	v_accvgpr_write_b32 a23, v15
	v_accvgpr_write_b32 a22, v14
	v_accvgpr_read_b32 v0, a15
	v_accvgpr_read_b32 v17, a13
	;; [unrolled: 1-line block ×5, first 2 shown]
	v_max_i32_e32 v7, 0, v1
	v_accvgpr_write_b32 a2, v22
	v_accvgpr_write_b32 a35, v19
	;; [unrolled: 1-line block ×4, first 2 shown]
	s_waitcnt vmcnt(0) lgkmcnt(0)
	v_ashrrev_i32_e32 v3, 31, v2
	v_mul_lo_u32 v4, v0, v2
	v_accvgpr_read_b32 v0, a14
	v_mul_lo_u32 v3, v0, v3
	v_mad_u64_u32 v[60:61], s[26:27], v0, v2, v[18:19]
	v_add_co_u32_e32 v2, vcc, v16, v18
	v_add3_u32 v61, v4, v61, v3
	v_addc_co_u32_e32 v3, vcc, v17, v19, vcc
	v_add_co_u32_e32 v4, vcc, v14, v60
	v_addc_co_u32_e32 v5, vcc, v15, v61, vcc
	v_cmp_ne_u64_e32 vcc, v[2:3], v[4:5]
	v_add_u32_e32 v2, 31, v7
	v_ashrrev_i32_e32 v3, 31, v2
	v_lshrrev_b32_e32 v3, 27, v3
	v_add_u32_e32 v2, v2, v3
	v_ashrrev_i32_e32 v2, 5, v2
	v_lshlrev_b32_e32 v2, 4, v2
	v_max_i32_e32 v56, s74, v2
	v_cmp_lt_i32_e64 s[26:27], 0, v1
	s_mov_b64 s[28:29], exec
	s_and_b64 vcc, s[28:29], vcc
	s_xor_b64 s[52:53], vcc, s[28:29]
	v_accvgpr_write_b32 a29, v56
	s_mov_b64 exec, vcc
	s_cbranch_execz .LBB10_258
; %bb.82:                               ;   in Loop: Header=BB10_81 Depth=1
	v_mov_b32_e32 v1, 0
	v_mov_b32_e32 v58, v56
	;; [unrolled: 1-line block ×3, first 2 shown]
	s_and_saveexec_b64 s[54:55], s[26:27]
	s_cbranch_execz .LBB10_401
; %bb.83:                               ;   in Loop: Header=BB10_81 Depth=1
	v_accvgpr_write_b32 a36, v60
	s_mov_b32 s76, 1
	s_mov_b64 s[58:59], -1
	s_mov_b64 s[56:57], 0
	v_mov_b32_e32 v31, 0
	v_mov_b32_e32 v58, v56
	v_accvgpr_write_b32 a37, v61
	s_branch .LBB10_86
.LBB10_84:                              ;   in Loop: Header=BB10_86 Depth=2
	s_or_b64 exec, exec, vcc
	v_add_co_u32_e32 v26, vcc, 2, v26
	v_addc_co_u32_e32 v27, vcc, 0, v27, vcc
	flat_store_dwordx2 v[28:29], v[26:27]
.LBB10_85:                              ;   in Loop: Header=BB10_86 Depth=2
	s_or_b64 exec, exec, s[28:29]
	v_add_u32_e32 v31, v58, v31
	v_cmp_ge_i32_e32 vcc, v31, v7
	s_xor_b64 s[28:29], s[58:59], -1
	s_or_b64 s[28:29], s[28:29], vcc
	s_and_b64 s[28:29], exec, s[28:29]
	s_or_b64 s[56:57], s[28:29], s[56:57]
	s_mov_b64 s[58:59], 0
	v_mov_b32_e32 v1, s76
	s_mov_b32 s76, 2
	s_andn2_b64 exec, exec, s[56:57]
	s_cbranch_execz .LBB10_400
.LBB10_86:                              ;   Parent Loop BB10_81 Depth=1
                                        ; =>  This Loop Header: Depth=2
                                        ;       Child Loop BB10_94 Depth 3
                                        ;       Child Loop BB10_118 Depth 3
	;; [unrolled: 1-line block ×9, first 2 shown]
                                        ;         Child Loop BB10_178 Depth 4
                                        ;       Child Loop BB10_187 Depth 3
                                        ;       Child Loop BB10_192 Depth 3
                                        ;         Child Loop BB10_193 Depth 4
                                        ;       Child Loop BB10_165 Depth 3
                                        ;       Child Loop BB10_245 Depth 3
	s_and_saveexec_b64 s[28:29], s[4:5]
	s_cbranch_execz .LBB10_88
; %bb.87:                               ;   in Loop: Header=BB10_86 Depth=2
	s_trap 2
	ds_read2_b64 v[2:5], v0 offset1:1
	ds_read_b64 v[14:15], v0
	v_accvgpr_read_b32 v0, a34
	v_accvgpr_read_b32 v1, a35
	v_ashrrev_i32_e32 v10, 31, v31
	s_waitcnt lgkmcnt(0)
	v_add_co_u32_e32 v0, vcc, v2, v0
	v_addc_co_u32_e32 v1, vcc, v3, v1, vcc
	v_add_co_u32_e32 v2, vcc, v0, v31
	v_addc_co_u32_e32 v3, vcc, v1, v10, vcc
	ds_write_b64 v0, v[2:3]
	v_add_co_u32_e32 v0, vcc, v4, v60
	v_addc_co_u32_e32 v1, vcc, v5, v61, vcc
	v_add_co_u32_e32 v2, vcc, v0, v31
	v_addc_co_u32_e32 v3, vcc, v1, v10, vcc
	ds_write_b64 v0, v[2:3]
	s_waitcnt lgkmcnt(2)
	v_add_co_u32_e32 v0, vcc, v14, v60
	v_addc_co_u32_e32 v1, vcc, v15, v61, vcc
	v_add_co_u32_e32 v0, vcc, v0, v31
	v_addc_co_u32_e32 v1, vcc, v1, v10, vcc
	v_cmp_ne_u64_e32 vcc, 0, v[14:15]
	v_cndmask_b32_e32 v3, 0, v1, vcc
	v_cndmask_b32_e32 v2, 0, v0, vcc
	ds_write_b64 v0, v[2:3]
.LBB10_88:                              ;   in Loop: Header=BB10_86 Depth=2
	s_or_b64 exec, exec, s[28:29]
	v_and_b32_e32 v0, 8, v62
	v_cmp_ne_u32_e32 vcc, 0, v0
	s_mov_b64 s[30:31], -1
	s_and_saveexec_b64 s[28:29], vcc
	s_cbranch_execz .LBB10_100
; %bb.89:                               ;   in Loop: Header=BB10_86 Depth=2
	v_add_co_u32_e32 v4, vcc, 8, v38
	v_addc_co_u32_e32 v5, vcc, 0, v39, vcc
	v_add_co_u32_e32 v2, vcc, 2, v26
	v_addc_co_u32_e32 v3, vcc, 0, v27, vcc
	v_cmp_lt_u64_e32 vcc, v[4:5], v[2:3]
	v_mov_b32_e32 v1, 1
	s_and_saveexec_b64 s[30:31], vcc
	s_cbranch_execz .LBB10_99
; %bb.90:                               ;   in Loop: Header=BB10_86 Depth=2
	s_mov_b64 s[34:35], 0
	v_mov_b32_e32 v1, 0
                                        ; implicit-def: $sgpr36_sgpr37
	s_branch .LBB10_94
.LBB10_91:                              ;   in Loop: Header=BB10_94 Depth=3
	s_or_b64 exec, exec, s[66:67]
	v_mov_b32_e32 v4, 0
	s_orn2_b64 s[64:65], s[64:65], exec
.LBB10_92:                              ;   in Loop: Header=BB10_94 Depth=3
	s_or_b64 exec, exec, s[62:63]
	s_andn2_b64 vcc, s[36:37], exec
	s_and_b64 s[36:37], s[64:65], exec
	s_or_b64 s[36:37], vcc, s[36:37]
	v_mov_b32_e32 v1, v4
.LBB10_93:                              ;   in Loop: Header=BB10_94 Depth=3
	s_or_b64 exec, exec, s[60:61]
	s_waitcnt vmcnt(0) lgkmcnt(0)
	v_add_co_u32_e32 v4, vcc, 8, v38
	v_addc_co_u32_e32 v5, vcc, 0, v39, vcc
	v_cmp_ge_u64_e32 vcc, v[4:5], v[2:3]
	s_xor_b64 s[60:61], s[36:37], -1
	s_or_b64 vcc, s[60:61], vcc
	s_and_b64 vcc, exec, vcc
	s_or_b64 s[34:35], vcc, s[34:35]
	s_andn2_b64 exec, exec, s[34:35]
	s_cbranch_execz .LBB10_98
.LBB10_94:                              ;   Parent Loop BB10_81 Depth=1
                                        ;     Parent Loop BB10_86 Depth=2
                                        ; =>    This Inner Loop Header: Depth=3
	s_sleep 1
	flat_load_dwordx2 v[38:39], v[28:29] glc
	v_and_b32_e32 v0, 64, v62
	v_cmp_eq_u32_e32 vcc, 0, v0
	s_andn2_b64 s[36:37], s[36:37], exec
	s_and_saveexec_b64 s[60:61], vcc
	s_cbranch_execz .LBB10_93
; %bb.95:                               ;   in Loop: Header=BB10_94 Depth=3
	v_add_u32_e32 v4, 1, v1
	v_cmp_lt_i32_e32 vcc, s72, v1
	s_mov_b64 s[64:65], -1
	s_and_saveexec_b64 s[62:63], vcc
	s_cbranch_execz .LBB10_92
; %bb.96:                               ;   in Loop: Header=BB10_94 Depth=3
	s_trap 2
	ds_read_b64 v[4:5], v0
	s_waitcnt vmcnt(0) lgkmcnt(0)
	flat_load_dword v1, v[4:5] glc
	s_waitcnt vmcnt(0) lgkmcnt(0)
	buffer_invl2
	buffer_wbinvl1_vol
	v_cmp_ne_u32_e32 vcc, 0, v1
	s_and_saveexec_b64 s[66:67], vcc
	s_cbranch_execz .LBB10_91
; %bb.97:                               ;   in Loop: Header=BB10_94 Depth=3
	v_or_b32_e32 v62, 64, v62
	s_xor_b64 s[64:65], exec, -1
	ds_write_b32 v0, v1
	s_trap 2
	s_branch .LBB10_91
.LBB10_98:                              ;   in Loop: Header=BB10_86 Depth=2
	s_or_b64 exec, exec, s[34:35]
	v_and_b32_e32 v1, 8, v62
.LBB10_99:                              ;   in Loop: Header=BB10_86 Depth=2
	s_or_b64 exec, exec, s[30:31]
	v_cmp_eq_u32_e32 vcc, 0, v1
	s_orn2_b64 s[30:31], vcc, exec
	;;#ASMSTART
	s_wakeup
	;;#ASMEND
.LBB10_100:                             ;   in Loop: Header=BB10_86 Depth=2
	s_or_b64 exec, exec, s[28:29]
	v_sub_u32_e32 v0, v7, v31
	s_xor_b64 s[28:29], s[30:31], -1
	v_min_i32_e32 v58, v58, v0
	s_and_saveexec_b64 s[30:31], s[28:29]
	s_cbranch_execz .LBB10_110
; %bb.101:                              ;   in Loop: Header=BB10_86 Depth=2
	v_and_b32_e32 v0, 0x100, v62
	v_cmp_ne_u32_e32 vcc, 0, v0
	v_and_b32_e32 v1, 7, v26
	s_mov_b64 s[28:29], -1
                                        ; implicit-def: $vgpr2_vgpr3
	s_and_saveexec_b64 s[34:35], vcc
	s_cbranch_execz .LBB10_105
; %bb.102:                              ;   in Loop: Header=BB10_86 Depth=2
	v_mad_u64_u32 v[4:5], s[28:29], v1, 24, v[12:13]
	flat_load_dword v0, v[4:5]
	v_ashrrev_i32_e32 v59, 31, v58
	flat_store_dwordx2 v[4:5], v[58:59] offset:8
                                        ; implicit-def: $vgpr2_vgpr3
	s_waitcnt vmcnt(0) lgkmcnt(0)
	v_cmp_ne_u32_e32 vcc, 1, v0
	v_cmp_eq_u32_e64 s[28:29], 1, v0
	s_and_saveexec_b64 s[36:37], s[28:29]
	s_cbranch_execz .LBB10_104
; %bb.103:                              ;   in Loop: Header=BB10_86 Depth=2
	flat_load_dword v2, v[4:5] offset:4 glc
	s_waitcnt vmcnt(0) lgkmcnt(0)
	v_ashrrev_i32_e32 v3, 31, v2
.LBB10_104:                             ;   in Loop: Header=BB10_86 Depth=2
	s_or_b64 exec, exec, s[36:37]
	s_orn2_b64 s[28:29], vcc, exec
.LBB10_105:                             ;   in Loop: Header=BB10_86 Depth=2
	s_or_b64 exec, exec, s[34:35]
	s_and_saveexec_b64 vcc, s[28:29]
; %bb.106:                              ;   in Loop: Header=BB10_86 Depth=2
	v_mad_i64_i32 v[2:3], s[28:29], v1, v30, 0
; %bb.107:                              ;   in Loop: Header=BB10_86 Depth=2
	s_or_b64 exec, exec, vcc
	v_add_co_u32_e32 v2, vcc, v32, v2
	v_addc_co_u32_e32 v3, vcc, v33, v3, vcc
	ds_write_b64 v0, v[2:3] offset:792
	v_and_b32_e32 v0, 0x2000, v62
	v_cmp_ne_u32_e32 vcc, 0, v0
	s_and_saveexec_b64 s[28:29], vcc
	s_cbranch_execz .LBB10_109
; %bb.108:                              ;   in Loop: Header=BB10_86 Depth=2
	ds_read_b64 v[2:3], v0 offset:584
	s_waitcnt lgkmcnt(0)
	v_add_co_u32_e32 v2, vcc, 1, v2
	v_addc_co_u32_e32 v3, vcc, 0, v3, vcc
	ds_write_b64 v0, v[2:3] offset:584
.LBB10_109:                             ;   in Loop: Header=BB10_86 Depth=2
	s_or_b64 exec, exec, s[28:29]
	v_add_co_u32_e32 v26, vcc, 2, v26
	v_addc_co_u32_e32 v27, vcc, 0, v27, vcc
.LBB10_110:                             ;   in Loop: Header=BB10_86 Depth=2
	s_or_b64 exec, exec, s[30:31]
	s_and_saveexec_b64 s[28:29], s[10:11]
	s_cbranch_execz .LBB10_129
; %bb.111:                              ;   in Loop: Header=BB10_86 Depth=2
	s_and_saveexec_b64 vcc, s[46:47]
	s_xor_b64 s[30:31], exec, vcc
	s_cbranch_execz .LBB10_126
; %bb.112:                              ;   in Loop: Header=BB10_86 Depth=2
	s_and_saveexec_b64 s[34:35], s[16:17]
	s_cbranch_execz .LBB10_125
; %bb.113:                              ;   in Loop: Header=BB10_86 Depth=2
	s_mov_b64 s[60:61], exec
	v_mbcnt_lo_u32_b32 v0, s60, 0
	v_mbcnt_hi_u32_b32 v0, s61, v0
	v_cmp_eq_u32_e32 vcc, 0, v0
	s_waitcnt vmcnt(0) lgkmcnt(0)
	buffer_wbinvl1_vol
	s_and_saveexec_b64 s[36:37], vcc
	s_cbranch_execz .LBB10_115
; %bb.114:                              ;   in Loop: Header=BB10_86 Depth=2
	s_bcnt1_i32_b64 vcc_lo, s[60:61]
	v_mov_b32_e32 v48, vcc_lo
	ds_add_u64 v0, v[48:49]
	s_trap 2
.LBB10_115:                             ;   in Loop: Header=BB10_86 Depth=2
	s_or_b64 exec, exec, s[36:37]
	s_trap 2
	ds_read_b64 v[2:3], v0
	v_add_co_u32_e32 v34, vcc, v34, v50
	v_addc_co_u32_e32 v35, vcc, 0, v35, vcc
	s_waitcnt lgkmcnt(0)
	v_cmp_lt_u64_e32 vcc, v[2:3], v[34:35]
	s_and_saveexec_b64 s[36:37], vcc
	s_cbranch_execz .LBB10_124
; %bb.116:                              ;   in Loop: Header=BB10_86 Depth=2
	s_mov_b32 s77, 0
	s_mov_b64 s[60:61], 0
                                        ; implicit-def: $sgpr62_sgpr63
                                        ; implicit-def: $sgpr64_sgpr65
	s_branch .LBB10_118
.LBB10_117:                             ;   in Loop: Header=BB10_118 Depth=3
	s_or_b64 exec, exec, s[68:69]
	s_and_b64 vcc, exec, vcc
	s_or_b64 s[60:61], vcc, s[60:61]
	s_andn2_b64 vcc, s[62:63], exec
	s_and_b64 s[62:63], s[64:65], exec
	s_or_b64 s[62:63], vcc, s[62:63]
	s_andn2_b64 exec, exec, s[60:61]
	s_cbranch_execz .LBB10_122
.LBB10_118:                             ;   Parent Loop BB10_81 Depth=1
                                        ;     Parent Loop BB10_86 Depth=2
                                        ; =>    This Inner Loop Header: Depth=3
	s_add_i32 s77, s77, 1
	s_cmpk_lg_i32 s77, 0x2710
	s_cselect_b64 s[66:67], -1, 0
	s_and_b64 vcc, exec, s[66:67]
                                        ; implicit-def: $sgpr68_sgpr69
	s_cbranch_vccnz .LBB10_120
; %bb.119:                              ;   in Loop: Header=BB10_118 Depth=3
	s_trap 2
	ds_read_b64 v[2:3], v0
	s_andn2_b64 s[66:67], s[66:67], exec
	s_mov_b32 s77, 0
	s_mov_b64 s[68:69], -1
	s_waitcnt lgkmcnt(0)
	flat_load_dword v0, v[2:3] glc
	s_waitcnt vmcnt(0) lgkmcnt(0)
	buffer_invl2
	buffer_wbinvl1_vol
	v_cmp_eq_u32_e32 vcc, 0, v0
	s_and_b64 vcc, vcc, exec
	s_or_b64 s[66:67], s[66:67], vcc
.LBB10_120:                             ;   in Loop: Header=BB10_118 Depth=3
	s_andn2_b64 s[64:65], s[64:65], exec
	s_and_b64 s[68:69], s[68:69], exec
	s_mov_b64 vcc, -1
	s_or_b64 s[64:65], s[64:65], s[68:69]
	s_and_saveexec_b64 s[68:69], s[66:67]
	s_cbranch_execz .LBB10_117
; %bb.121:                              ;   in Loop: Header=BB10_118 Depth=3
	s_sleep 1
	s_trap 2
	ds_read_b64 v[2:3], v0
	s_andn2_b64 s[64:65], s[64:65], exec
	s_waitcnt lgkmcnt(0)
	v_cmp_ge_u64_e32 vcc, v[2:3], v[34:35]
	s_orn2_b64 vcc, vcc, exec
	s_branch .LBB10_117
.LBB10_122:                             ;   in Loop: Header=BB10_86 Depth=2
	s_or_b64 exec, exec, s[60:61]
	s_and_saveexec_b64 vcc, s[62:63]
	s_xor_b64 vcc, exec, vcc
	s_cbranch_execz .LBB10_124
; %bb.123:                              ;   in Loop: Header=BB10_86 Depth=2
	ds_write_b32 v0, v42
	s_trap 2
.LBB10_124:                             ;   in Loop: Header=BB10_86 Depth=2
	s_or_b64 exec, exec, s[36:37]
	;;#ASMSTART
	s_wakeup
	;;#ASMEND
.LBB10_125:                             ;   in Loop: Header=BB10_86 Depth=2
	s_or_b64 exec, exec, s[34:35]
.LBB10_126:                             ;   in Loop: Header=BB10_86 Depth=2
	s_andn2_saveexec_b64 vcc, s[30:31]
	s_cbranch_execz .LBB10_128
; %bb.127:                              ;   in Loop: Header=BB10_86 Depth=2
	s_waitcnt vmcnt(0) lgkmcnt(0)
	buffer_wbinvl1_vol
	s_barrier
.LBB10_128:                             ;   in Loop: Header=BB10_86 Depth=2
	s_or_b64 exec, exec, vcc
.LBB10_129:                             ;   in Loop: Header=BB10_86 Depth=2
	s_or_b64 exec, exec, s[28:29]
	s_trap 2
	ds_read_b32 v1, v0
	v_and_b32_e32 v0, 0x4000, v62
	v_cmp_ne_u32_e32 vcc, 0, v0
	s_xor_b64 s[28:29], s[6:7], -1
	s_and_b64 vcc, s[28:29], vcc
	s_and_saveexec_b64 s[28:29], vcc
	s_cbranch_execz .LBB10_148
; %bb.130:                              ;   in Loop: Header=BB10_86 Depth=2
	s_and_saveexec_b64 vcc, s[46:47]
	s_xor_b64 s[30:31], exec, vcc
	s_cbranch_execz .LBB10_145
; %bb.131:                              ;   in Loop: Header=BB10_86 Depth=2
	s_and_saveexec_b64 s[34:35], s[16:17]
	s_cbranch_execz .LBB10_144
; %bb.132:                              ;   in Loop: Header=BB10_86 Depth=2
	s_mov_b64 s[60:61], exec
	v_mbcnt_lo_u32_b32 v0, s60, 0
	v_mbcnt_hi_u32_b32 v0, s61, v0
	v_cmp_eq_u32_e32 vcc, 0, v0
	s_waitcnt vmcnt(0) lgkmcnt(0)
	buffer_wbinvl1_vol
	s_and_saveexec_b64 s[36:37], vcc
	s_cbranch_execz .LBB10_134
; %bb.133:                              ;   in Loop: Header=BB10_86 Depth=2
	s_bcnt1_i32_b64 vcc_lo, s[60:61]
	v_mov_b32_e32 v48, vcc_lo
	ds_add_u64 v0, v[48:49]
	s_trap 2
.LBB10_134:                             ;   in Loop: Header=BB10_86 Depth=2
	s_or_b64 exec, exec, s[36:37]
	s_trap 2
	ds_read_b64 v[2:3], v0
	v_add_co_u32_e32 v34, vcc, v34, v50
	v_addc_co_u32_e32 v35, vcc, 0, v35, vcc
	s_waitcnt lgkmcnt(0)
	v_cmp_lt_u64_e32 vcc, v[2:3], v[34:35]
	s_and_saveexec_b64 s[36:37], vcc
	s_cbranch_execz .LBB10_143
; %bb.135:                              ;   in Loop: Header=BB10_86 Depth=2
	s_mov_b32 s77, 0
	s_mov_b64 s[60:61], 0
                                        ; implicit-def: $sgpr62_sgpr63
                                        ; implicit-def: $sgpr64_sgpr65
	s_branch .LBB10_137
.LBB10_136:                             ;   in Loop: Header=BB10_137 Depth=3
	s_or_b64 exec, exec, s[68:69]
	s_and_b64 vcc, exec, vcc
	s_or_b64 s[60:61], vcc, s[60:61]
	s_andn2_b64 vcc, s[62:63], exec
	s_and_b64 s[62:63], s[64:65], exec
	s_or_b64 s[62:63], vcc, s[62:63]
	s_andn2_b64 exec, exec, s[60:61]
	s_cbranch_execz .LBB10_141
.LBB10_137:                             ;   Parent Loop BB10_81 Depth=1
                                        ;     Parent Loop BB10_86 Depth=2
                                        ; =>    This Inner Loop Header: Depth=3
	s_add_i32 s77, s77, 1
	s_cmpk_lg_i32 s77, 0x2710
	s_cselect_b64 s[66:67], -1, 0
	s_and_b64 vcc, exec, s[66:67]
                                        ; implicit-def: $sgpr68_sgpr69
	s_cbranch_vccnz .LBB10_139
; %bb.138:                              ;   in Loop: Header=BB10_137 Depth=3
	s_trap 2
	ds_read_b64 v[2:3], v0
	s_andn2_b64 s[66:67], s[66:67], exec
	s_mov_b32 s77, 0
	s_mov_b64 s[68:69], -1
	s_waitcnt lgkmcnt(0)
	flat_load_dword v0, v[2:3] glc
	s_waitcnt vmcnt(0) lgkmcnt(0)
	buffer_invl2
	buffer_wbinvl1_vol
	v_cmp_eq_u32_e32 vcc, 0, v0
	s_and_b64 vcc, vcc, exec
	s_or_b64 s[66:67], s[66:67], vcc
.LBB10_139:                             ;   in Loop: Header=BB10_137 Depth=3
	s_andn2_b64 s[64:65], s[64:65], exec
	s_and_b64 s[68:69], s[68:69], exec
	s_mov_b64 vcc, -1
	s_or_b64 s[64:65], s[64:65], s[68:69]
	s_and_saveexec_b64 s[68:69], s[66:67]
	s_cbranch_execz .LBB10_136
; %bb.140:                              ;   in Loop: Header=BB10_137 Depth=3
	s_sleep 1
	s_trap 2
	ds_read_b64 v[2:3], v0
	s_andn2_b64 s[64:65], s[64:65], exec
	s_waitcnt lgkmcnt(0)
	v_cmp_ge_u64_e32 vcc, v[2:3], v[34:35]
	s_orn2_b64 vcc, vcc, exec
	s_branch .LBB10_136
.LBB10_141:                             ;   in Loop: Header=BB10_86 Depth=2
	s_or_b64 exec, exec, s[60:61]
	s_and_saveexec_b64 vcc, s[62:63]
	s_xor_b64 vcc, exec, vcc
	s_cbranch_execz .LBB10_143
; %bb.142:                              ;   in Loop: Header=BB10_86 Depth=2
	ds_write_b32 v0, v42
	s_trap 2
.LBB10_143:                             ;   in Loop: Header=BB10_86 Depth=2
	s_or_b64 exec, exec, s[36:37]
	;;#ASMSTART
	s_wakeup
	;;#ASMEND
.LBB10_144:                             ;   in Loop: Header=BB10_86 Depth=2
	s_or_b64 exec, exec, s[34:35]
.LBB10_145:                             ;   in Loop: Header=BB10_86 Depth=2
	s_andn2_saveexec_b64 vcc, s[30:31]
	s_cbranch_execz .LBB10_147
; %bb.146:                              ;   in Loop: Header=BB10_86 Depth=2
	s_waitcnt vmcnt(0) lgkmcnt(0)
	buffer_wbinvl1_vol
	s_barrier
.LBB10_147:                             ;   in Loop: Header=BB10_86 Depth=2
	s_or_b64 exec, exec, vcc
.LBB10_148:                             ;   in Loop: Header=BB10_86 Depth=2
	s_or_b64 exec, exec, s[28:29]
	s_trap 2
	ds_read_b64 v[2:3], v0
	v_mov_b32_e32 v59, 0
	s_waitcnt lgkmcnt(0)
	v_readfirstlane_b32 s28, v2
	v_readfirstlane_b32 s29, v3
	s_cmp_eq_u64 s[28:29], 0
	s_cselect_b64 s[28:29], -1, 0
	s_or_b64 s[28:29], s[28:29], s[28:29]
	s_and_b64 vcc, exec, s[28:29]
	s_cbranch_vccnz .LBB10_157
; %bb.149:                              ;   in Loop: Header=BB10_86 Depth=2
	s_trap 2
	ds_read_b64 v[2:3], v0
	v_cmp_eq_u32_e64 s[28:29], 0, v1
	v_cndmask_b32_e64 v59, 0, v58, s[28:29]
	s_waitcnt lgkmcnt(0)
	v_cmp_ne_u64_e32 vcc, 0, v[2:3]
	s_cbranch_vccz .LBB10_169
; %bb.150:                              ;   in Loop: Header=BB10_86 Depth=2
	s_mov_b64 s[30:31], -1
	s_and_saveexec_b64 s[28:29], s[18:19]
	s_cbranch_execz .LBB10_152
; %bb.151:                              ;   in Loop: Header=BB10_86 Depth=2
	ds_read_b32 v0, v0 offset:720
	s_waitcnt lgkmcnt(0)
	v_and_b32_e32 v0, 15, v0
	v_cmp_eq_u32_e32 vcc, 0, v0
	s_orn2_b64 s[30:31], vcc, exec
.LBB10_152:                             ;   in Loop: Header=BB10_86 Depth=2
	s_or_b64 exec, exec, s[28:29]
	s_and_saveexec_b64 s[28:29], s[20:21]
	s_cbranch_execz .LBB10_154
; %bb.153:                              ;   in Loop: Header=BB10_86 Depth=2
	ds_read_b32 v0, v0 offset:784
	s_waitcnt lgkmcnt(0)
	v_and_b32_e32 v0, 15, v0
	v_cmp_eq_u32_e32 vcc, 0, v0
	s_and_b64 vcc, s[30:31], vcc
	s_andn2_b64 s[30:31], s[30:31], exec
	s_and_b64 vcc, vcc, exec
	s_or_b64 s[30:31], s[30:31], vcc
.LBB10_154:                             ;   in Loop: Header=BB10_86 Depth=2
	s_or_b64 exec, exec, s[28:29]
	s_xor_b64 vcc, s[30:31], -1
	v_cndmask_b32_e64 v0, 0, 1, vcc
	s_mov_b64 s[28:29], -1
	;;#ASMSTART
	;;#ASMEND
	v_cmp_ne_u32_e32 vcc, 0, v0
	v_mov_b32_e32 v22, 0
	v_mov_b32_e32 v23, v59
	;; [unrolled: 1-line block ×4, first 2 shown]
	s_cbranch_vccz .LBB10_170
; %bb.155:                              ;   in Loop: Header=BB10_86 Depth=2
	s_and_saveexec_b64 s[34:35], s[28:29]
	s_cbranch_execnz .LBB10_185
.LBB10_156:                             ;   in Loop: Header=BB10_86 Depth=2
	s_or_b64 exec, exec, s[34:35]
.LBB10_157:                             ;   in Loop: Header=BB10_86 Depth=2
	s_and_saveexec_b64 s[28:29], s[10:11]
	s_cbranch_execz .LBB10_232
.LBB10_158:                             ;   in Loop: Header=BB10_86 Depth=2
	s_and_saveexec_b64 vcc, s[46:47]
	s_xor_b64 s[30:31], exec, vcc
	s_cbranch_execz .LBB10_229
; %bb.159:                              ;   in Loop: Header=BB10_86 Depth=2
	s_and_saveexec_b64 s[34:35], s[16:17]
	s_cbranch_execz .LBB10_228
; %bb.160:                              ;   in Loop: Header=BB10_86 Depth=2
	s_mov_b64 s[60:61], exec
	v_mbcnt_lo_u32_b32 v0, s60, 0
	v_mbcnt_hi_u32_b32 v0, s61, v0
	v_cmp_eq_u32_e32 vcc, 0, v0
	s_waitcnt vmcnt(0) lgkmcnt(0)
	buffer_wbinvl1_vol
	s_and_saveexec_b64 s[36:37], vcc
	s_cbranch_execz .LBB10_162
; %bb.161:                              ;   in Loop: Header=BB10_86 Depth=2
	s_bcnt1_i32_b64 vcc_lo, s[60:61]
	v_mov_b32_e32 v48, vcc_lo
	ds_add_u64 v0, v[48:49]
	s_trap 2
.LBB10_162:                             ;   in Loop: Header=BB10_86 Depth=2
	s_or_b64 exec, exec, s[36:37]
	s_trap 2
	ds_read_b64 v[2:3], v0
	v_add_co_u32_e32 v34, vcc, v34, v50
	v_addc_co_u32_e32 v35, vcc, 0, v35, vcc
	s_waitcnt lgkmcnt(0)
	v_cmp_lt_u64_e32 vcc, v[2:3], v[34:35]
	s_and_saveexec_b64 s[36:37], vcc
	s_cbranch_execz .LBB10_227
; %bb.163:                              ;   in Loop: Header=BB10_86 Depth=2
	s_mov_b32 s77, 0
	s_mov_b64 s[60:61], 0
                                        ; implicit-def: $sgpr62_sgpr63
                                        ; implicit-def: $sgpr64_sgpr65
	s_branch .LBB10_165
.LBB10_164:                             ;   in Loop: Header=BB10_165 Depth=3
	s_or_b64 exec, exec, s[68:69]
	s_and_b64 vcc, exec, vcc
	s_or_b64 s[60:61], vcc, s[60:61]
	s_andn2_b64 vcc, s[62:63], exec
	s_and_b64 s[62:63], s[64:65], exec
	s_or_b64 s[62:63], vcc, s[62:63]
	s_andn2_b64 exec, exec, s[60:61]
	s_cbranch_execz .LBB10_225
.LBB10_165:                             ;   Parent Loop BB10_81 Depth=1
                                        ;     Parent Loop BB10_86 Depth=2
                                        ; =>    This Inner Loop Header: Depth=3
	s_add_i32 s77, s77, 1
	s_cmpk_lg_i32 s77, 0x2710
	s_cselect_b64 s[66:67], -1, 0
	s_and_b64 vcc, exec, s[66:67]
                                        ; implicit-def: $sgpr68_sgpr69
	s_cbranch_vccnz .LBB10_167
; %bb.166:                              ;   in Loop: Header=BB10_165 Depth=3
	s_trap 2
	ds_read_b64 v[2:3], v0
	s_andn2_b64 s[66:67], s[66:67], exec
	s_mov_b32 s77, 0
	s_mov_b64 s[68:69], -1
	s_waitcnt lgkmcnt(0)
	flat_load_dword v0, v[2:3] glc
	s_waitcnt vmcnt(0) lgkmcnt(0)
	buffer_invl2
	buffer_wbinvl1_vol
	v_cmp_eq_u32_e32 vcc, 0, v0
	s_and_b64 vcc, vcc, exec
	s_or_b64 s[66:67], s[66:67], vcc
.LBB10_167:                             ;   in Loop: Header=BB10_165 Depth=3
	s_andn2_b64 s[64:65], s[64:65], exec
	s_and_b64 s[68:69], s[68:69], exec
	s_mov_b64 vcc, -1
	s_or_b64 s[64:65], s[64:65], s[68:69]
	s_and_saveexec_b64 s[68:69], s[66:67]
	s_cbranch_execz .LBB10_164
; %bb.168:                              ;   in Loop: Header=BB10_165 Depth=3
	s_sleep 1
	s_trap 2
	ds_read_b64 v[2:3], v0
	s_andn2_b64 s[64:65], s[64:65], exec
	s_waitcnt lgkmcnt(0)
	v_cmp_ge_u64_e32 vcc, v[2:3], v[34:35]
	s_orn2_b64 vcc, vcc, exec
	s_branch .LBB10_164
.LBB10_169:                             ;   in Loop: Header=BB10_86 Depth=2
	s_cbranch_execnz .LBB10_196
	s_branch .LBB10_157
.LBB10_170:                             ;   in Loop: Header=BB10_86 Depth=2
	v_ashrrev_i32_e32 v0, 31, v59
	v_lshrrev_b32_e32 v0, 21, v0
	v_add_u32_e32 v0, v59, v0
	v_ashrrev_i32_e32 v1, 11, v0
	v_sub_u32_e32 v10, v1, v53
	v_cmp_lt_i32_e32 vcc, 0, v10
	s_and_saveexec_b64 s[28:29], vcc
	s_cbranch_execz .LBB10_174
; %bb.171:                              ;   in Loop: Header=BB10_86 Depth=2
	s_trap 2
	ds_read_b64 v[2:3], v0
	ds_read_b128 v[14:17], v0
	v_accvgpr_read_b32 v18, a32
	v_accvgpr_read_b32 v19, a33
	s_mov_b64 s[30:31], 0
	s_waitcnt lgkmcnt(0)
	v_add_co_u32_e32 v2, vcc, v2, v18
	v_addc_co_u32_e32 v3, vcc, v3, v19, vcc
	s_waitcnt lgkmcnt(0)
	v_add_co_u32_e32 v4, vcc, v14, v18
	v_addc_co_u32_e32 v5, vcc, v15, v19, vcc
	v_add_co_u32_e32 v14, vcc, v16, v18
	v_addc_co_u32_e32 v15, vcc, v17, v19, vcc
.LBB10_172:                             ;   Parent Loop BB10_81 Depth=1
                                        ;     Parent Loop BB10_86 Depth=2
                                        ; =>    This Inner Loop Header: Depth=3
	global_load_dwordx4 v[16:19], v[2:3], off glc slc
	global_load_dwordx4 v[44:47], v[2:3], off offset:1024 glc slc
	v_add_co_u32_e32 v2, vcc, v2, v20
	v_addc_co_u32_e32 v3, vcc, v3, v21, vcc
	v_sub_u32_e32 v10, v10, v50
	v_cmp_gt_i32_e32 vcc, 1, v10
	s_or_b64 s[30:31], vcc, s[30:31]
	s_waitcnt vmcnt(0)
	global_store_dwordx4 v[4:5], v[16:19], off glc slc
	s_waitcnt vmcnt(1)
	global_store_dwordx4 v[4:5], v[44:47], off offset:1024 glc slc
	global_store_dwordx4 v[14:15], v[16:19], off glc slc
	global_store_dwordx4 v[14:15], v[44:47], off offset:1024 glc slc
	v_add_co_u32_e32 v4, vcc, v4, v20
	v_addc_co_u32_e32 v5, vcc, v5, v21, vcc
	v_add_co_u32_e32 v14, vcc, v14, v20
	v_addc_co_u32_e32 v15, vcc, v15, v21, vcc
	s_andn2_b64 exec, exec, s[30:31]
	s_cbranch_execnz .LBB10_172
; %bb.173:                              ;   in Loop: Header=BB10_86 Depth=2
	s_or_b64 exec, exec, s[30:31]
.LBB10_174:                             ;   in Loop: Header=BB10_86 Depth=2
	s_or_b64 exec, exec, s[28:29]
	v_lshlrev_b32_e32 v1, 11, v1
	v_cmp_ne_u32_e32 vcc, v59, v1
	s_mov_b64 s[28:29], 0
	v_mov_b32_e32 v22, 0
                                        ; implicit-def: $vgpr23
                                        ; implicit-def: $vgpr48
                                        ; implicit-def: $vgpr2
	s_and_saveexec_b64 s[60:61], vcc
	s_cbranch_execz .LBB10_184
; %bb.175:                              ;   in Loop: Header=BB10_86 Depth=2
	v_lshlrev_b32_e32 v2, 6, v10
	v_accvgpr_read_b32 v3, a28
	v_sub_u32_e32 v2, v3, v2
	v_ashrrev_i32_e32 v3, 31, v2
	v_lshrrev_b32_e32 v3, 26, v3
	v_add_u32_e32 v3, v2, v3
	v_sub_u32_e32 v0, v59, v1
	v_ashrrev_i32_e32 v4, 6, v3
	v_and_b32_e32 v3, 0xffffffc0, v3
	v_sub_u32_e32 v10, v2, v3
	v_ashrrev_i32_e32 v3, 31, v0
	v_lshrrev_b32_e32 v3, 22, v3
	v_add_u32_e32 v3, v0, v3
	v_and_b32_e32 v18, 0xfffffc00, v3
	v_lshlrev_b32_e32 v2, 4, v10
	v_sub_u32_e32 v52, v0, v18
	v_lshl_add_u32 v2, v4, 10, v2
	v_ashrrev_i32_e32 v5, 10, v3
	v_cmp_lt_i32_e64 s[28:29], 15, v52
	v_sub_u32_e32 v48, v0, v2
	v_addc_co_u32_e64 v0, vcc, 0, v5, s[28:29]
	v_sub_u32_e32 v19, v0, v4
	v_cmp_lt_i32_e32 vcc, 15, v48
	s_and_saveexec_b64 s[62:63], vcc
	s_cbranch_execz .LBB10_181
; %bb.176:                              ;   in Loop: Header=BB10_86 Depth=2
	s_trap 2
	ds_read_b64 v[14:15], v0
	v_add_u32_e32 v0, v2, v1
	ds_read_b128 v[2:5], v0
	v_ashrrev_i32_e32 v16, 31, v0
	s_mov_b64 s[64:65], 0
	s_waitcnt lgkmcnt(0)
	v_add_co_u32_e32 v22, vcc, v14, v0
	v_addc_co_u32_e32 v23, vcc, v15, v16, vcc
	s_waitcnt lgkmcnt(0)
	v_add_co_u32_e32 v2, vcc, v2, v0
	v_addc_co_u32_e32 v3, vcc, v3, v16, vcc
	v_add_co_u32_e32 v4, vcc, v4, v0
	v_addc_co_u32_e32 v5, vcc, v5, v16, vcc
.LBB10_177:                             ;   Parent Loop BB10_81 Depth=1
                                        ;     Parent Loop BB10_86 Depth=2
                                        ; =>    This Loop Header: Depth=3
                                        ;         Child Loop BB10_178 Depth 4
	global_load_dwordx4 v[14:17], v[22:23], off glc slc
	s_mov_b64 s[68:69], -1
	s_mov_b64 s[66:67], 0
	s_waitcnt vmcnt(0)
.LBB10_178:                             ;   Parent Loop BB10_81 Depth=1
                                        ;     Parent Loop BB10_86 Depth=2
                                        ;       Parent Loop BB10_177 Depth=3
                                        ; =>      This Inner Loop Header: Depth=4
	s_cmp_eq_u32 s66, 0
	s_cselect_b64 s[30:31], -1, 0
	s_cmp_eq_u32 s66, 1
	s_cselect_b64 s[36:37], -1, 0
	v_cndmask_b32_e64 v0, 0, 1, s[68:69]
	v_cndmask_b32_e64 v44, v2, v4, s[36:37]
	v_cmp_ne_u32_e64 s[34:35], 1, v0
	v_cndmask_b32_e64 v45, v3, v5, s[36:37]
	v_add_co_u32_e32 v0, vcc, 0x400, v44
	v_addc_co_u32_e32 v24, vcc, 0, v45, vcc
	s_mov_b64 s[68:69], 0
	s_mov_b64 s[66:67], 1
	v_cndmask_b32_e64 v4, v4, v0, s[36:37]
	s_and_b64 vcc, exec, s[34:35]
	v_cndmask_b32_e64 v5, v5, v24, s[36:37]
	v_cndmask_b32_e64 v3, v3, v24, s[30:31]
	;; [unrolled: 1-line block ×3, first 2 shown]
	global_store_dwordx4 v[44:45], v[14:17], off glc slc
	s_cbranch_vccz .LBB10_178
; %bb.179:                              ;   in Loop: Header=BB10_177 Depth=3
	v_add_co_u32_e32 v2, vcc, v2, v54
	v_addc_co_u32_e32 v3, vcc, v3, v57, vcc
	v_add_co_u32_e32 v4, vcc, v4, v54
	v_addc_co_u32_e32 v5, vcc, v5, v57, vcc
	;; [unrolled: 2-line block ×3, first 2 shown]
	v_sub_u32_e32 v48, v48, v51
	v_cmp_gt_i32_e32 vcc, 16, v48
	s_or_b64 s[64:65], vcc, s[64:65]
	v_sub_u32_e32 v19, v19, v50
	s_andn2_b64 exec, exec, s[64:65]
	s_cbranch_execnz .LBB10_177
; %bb.180:                              ;   in Loop: Header=BB10_86 Depth=2
	s_or_b64 exec, exec, s[64:65]
.LBB10_181:                             ;   in Loop: Header=BB10_86 Depth=2
	s_or_b64 exec, exec, s[62:63]
	v_and_b32_e32 v3, 15, v59
	v_cndmask_b32_e64 v23, v52, v3, s[28:29]
	v_cmp_ne_u32_e32 vcc, 0, v23
	s_mov_b64 s[30:31], 0
	v_mov_b32_e32 v22, 0
                                        ; implicit-def: $vgpr48
                                        ; implicit-def: $vgpr2
	s_and_saveexec_b64 s[34:35], vcc
	s_cbranch_execz .LBB10_183
; %bb.182:                              ;   in Loop: Header=BB10_86 Depth=2
	v_sub_u32_e32 v0, v52, v3
	v_cndmask_b32_e64 v0, 0, v0, s[28:29]
	v_cmp_lt_i32_e32 vcc, 0, v19
	v_add3_u32 v22, v18, v1, v0
	v_cndmask_b32_e32 v0, 0, v50, vcc
	v_sub_u32_e32 v0, v0, v19
	v_lshl_add_u32 v48, v0, 6, v10
	v_ashrrev_i32_e32 v0, 31, v48
	v_lshrrev_b32_e32 v0, 26, v0
	v_add_u32_e32 v0, v48, v0
	s_mov_b64 s[30:31], exec
	v_ashrrev_i32_e32 v2, 6, v0
.LBB10_183:                             ;   in Loop: Header=BB10_86 Depth=2
	s_or_b64 exec, exec, s[34:35]
	s_and_b64 s[28:29], s[30:31], exec
.LBB10_184:                             ;   in Loop: Header=BB10_86 Depth=2
	s_or_b64 exec, exec, s[60:61]
	s_and_saveexec_b64 s[34:35], s[28:29]
	s_cbranch_execz .LBB10_156
.LBB10_185:                             ;   in Loop: Header=BB10_86 Depth=2
	v_ashrrev_i32_e32 v0, 31, v23
	v_lshrrev_b32_e32 v0, 22, v0
	v_add_u32_e32 v0, v23, v0
	v_ashrrev_i32_e32 v18, 10, v0
	v_sub_u32_e32 v1, v18, v2
	v_ashrrev_i32_e32 v0, 31, v48
	v_cmp_lt_i32_e32 vcc, 0, v1
	v_lshrrev_b32_e32 v0, 26, v0
	s_and_saveexec_b64 s[28:29], vcc
	s_cbranch_execz .LBB10_189
; %bb.186:                              ;   in Loop: Header=BB10_86 Depth=2
	v_accvgpr_write_b32 a4, v0
	v_add_u32_e32 v0, v48, v0
	v_and_b32_e32 v0, 0xffffffc0, v0
	v_sub_u32_e32 v0, v48, v0
	s_trap 2
	ds_read_b64 v[44:45], v0
	ds_read_b128 v[14:17], v0
	v_lshlrev_b32_e32 v2, 10, v2
	v_add3_u32 v0, v22, v0, v2
	v_ashrrev_i32_e32 v19, 31, v0
	s_mov_b64 s[30:31], 0
	s_waitcnt lgkmcnt(0)
	v_add_co_u32_e32 v2, vcc, v14, v0
	v_addc_co_u32_e32 v3, vcc, v15, v19, vcc
	v_add_co_u32_e32 v4, vcc, v16, v0
	v_addc_co_u32_e32 v5, vcc, v17, v19, vcc
	;; [unrolled: 2-line block ×4, first 2 shown]
.LBB10_187:                             ;   Parent Loop BB10_81 Depth=1
                                        ;     Parent Loop BB10_86 Depth=2
                                        ; =>    This Inner Loop Header: Depth=3
	v_add_co_u32_e32 v16, vcc, 0xfffffc40, v14
	v_addc_co_u32_e32 v17, vcc, -1, v15, vcc
	v_add_co_u32_e32 v44, vcc, 0xfffffc80, v14
	v_addc_co_u32_e32 v45, vcc, -1, v15, vcc
	;; [unrolled: 2-line block ×3, first 2 shown]
	flat_load_ubyte v16, v[16:17] glc slc
	v_sub_u32_e32 v1, v1, v50
	flat_load_ubyte v17, v[44:45] glc slc
	v_add_co_u32_e32 v44, vcc, 0xfffffd00, v14
	v_addc_co_u32_e32 v45, vcc, -1, v15, vcc
	flat_load_ubyte v52, v[46:47] glc slc
	v_add_co_u32_e32 v46, vcc, 0xfffffd40, v14
	v_addc_co_u32_e32 v47, vcc, -1, v15, vcc
	;; [unrolled: 3-line block ×4, first 2 shown]
	flat_load_ubyte v51, v[44:45] glc slc
	v_add_co_u32_e32 v44, vcc, 0xfffffe00, v14
	flat_load_ubyte v19, v[14:15] glc slc
	v_addc_co_u32_e32 v45, vcc, -1, v15, vcc
	flat_load_ubyte v53, v[46:47] glc slc
	v_add_co_u32_e32 v46, vcc, 0xfffffe40, v14
	v_addc_co_u32_e32 v47, vcc, -1, v15, vcc
	flat_load_ubyte v54, v[44:45] glc slc
	v_add_co_u32_e32 v44, vcc, 0xfffffe80, v14
	;; [unrolled: 3-line block ×7, first 2 shown]
	flat_load_ubyte v44, v[44:45] glc slc
	v_addc_co_u32_e32 v47, vcc, -1, v15, vcc
	flat_load_ubyte v45, v[46:47] glc slc
	v_cmp_gt_i32_e32 vcc, 1, v1
	s_or_b64 s[30:31], vcc, s[30:31]
	v_add_co_u32_e32 v14, vcc, v14, v11
	v_addc_co_u32_e32 v15, vcc, v15, v6, vcc
	s_waitcnt vmcnt(0) lgkmcnt(0)
	flat_store_byte v[2:3], v19 offset:960 glc slc
	flat_store_byte v[2:3], v16 glc slc
	flat_store_byte v[2:3], v17 offset:64 glc slc
	flat_store_byte v[2:3], v52 offset:128 glc slc
	;; [unrolled: 1-line block ×14, first 2 shown]
	flat_store_byte v[4:5], v16 glc slc
	flat_store_byte v[4:5], v17 offset:64 glc slc
	flat_store_byte v[4:5], v52 offset:128 glc slc
	;; [unrolled: 1-line block ×15, first 2 shown]
	v_add_co_u32_e32 v2, vcc, v2, v11
	v_addc_co_u32_e32 v3, vcc, v3, v6, vcc
	v_add_co_u32_e32 v4, vcc, v4, v11
	v_addc_co_u32_e32 v5, vcc, v5, v6, vcc
	s_andn2_b64 exec, exec, s[30:31]
	s_cbranch_execnz .LBB10_187
; %bb.188:                              ;   in Loop: Header=BB10_86 Depth=2
	s_or_b64 exec, exec, s[30:31]
	v_accvgpr_read_b32 v61, a37
	v_accvgpr_read_b32 v51, a24
	;; [unrolled: 1-line block ×8, first 2 shown]
.LBB10_189:                             ;   in Loop: Header=BB10_86 Depth=2
	s_or_b64 exec, exec, s[28:29]
	v_lshlrev_b32_e32 v2, 10, v18
	v_cmp_ne_u32_e32 vcc, v23, v2
	s_and_saveexec_b64 s[36:37], vcc
	s_cbranch_execz .LBB10_195
; %bb.190:                              ;   in Loop: Header=BB10_86 Depth=2
	v_add_u32_e32 v0, v48, v0
	v_and_b32_e32 v0, 0xffffffc0, v0
	v_sub_u32_e32 v0, v48, v0
	v_lshlrev_b32_e32 v1, 6, v1
	v_sub_u32_e32 v0, v0, v1
	v_add_u32_e32 v2, v2, v0
	v_sub_u32_e32 v1, v23, v2
	v_cmp_lt_i32_e32 vcc, 0, v1
	s_and_b64 exec, exec, vcc
	s_cbranch_execz .LBB10_195
; %bb.191:                              ;   in Loop: Header=BB10_86 Depth=2
	s_trap 2
	ds_read_b64 v[14:15], v0
	v_add_u32_e32 v0, v2, v22
	ds_read_b128 v[2:5], v0
	v_ashrrev_i32_e32 v10, 31, v0
	s_mov_b64 s[60:61], 0
	s_waitcnt lgkmcnt(0)
	v_add_co_u32_e32 v14, vcc, v14, v0
	v_addc_co_u32_e32 v15, vcc, v15, v10, vcc
	v_add_co_u32_e32 v2, vcc, v2, v0
	v_addc_co_u32_e32 v3, vcc, v3, v10, vcc
	v_add_co_u32_e32 v4, vcc, v4, v0
	v_addc_co_u32_e32 v5, vcc, v5, v10, vcc
.LBB10_192:                             ;   Parent Loop BB10_81 Depth=1
                                        ;     Parent Loop BB10_86 Depth=2
                                        ; =>    This Loop Header: Depth=3
                                        ;         Child Loop BB10_193 Depth 4
	flat_load_ubyte v10, v[14:15] glc slc
	s_mov_b64 s[62:63], -1
	s_mov_b64 s[64:65], 0
	s_waitcnt vmcnt(0)
.LBB10_193:                             ;   Parent Loop BB10_81 Depth=1
                                        ;     Parent Loop BB10_86 Depth=2
                                        ;       Parent Loop BB10_192 Depth=3
                                        ; =>      This Inner Loop Header: Depth=4
	s_cmp_eq_u32 s64, 1
	s_cselect_b64 vcc, -1, 0
	v_cndmask_b32_e32 v16, v2, v4, vcc
	v_cndmask_b32_e32 v17, v3, v5, vcc
	v_add_co_u32_e64 v0, s[28:29], 64, v16
	s_cmp_eq_u32 s64, 0
	s_waitcnt lgkmcnt(0)
	flat_store_byte v[16:17], v10 glc slc
	v_addc_co_u32_e64 v16, s[28:29], 0, v17, s[28:29]
	s_cselect_b64 s[28:29], -1, 0
	s_and_b64 s[30:31], exec, s[62:63]
	s_mov_b64 s[64:65], 1
	s_mov_b64 s[62:63], 0
	v_cndmask_b32_e32 v5, v5, v16, vcc
	v_cndmask_b32_e32 v4, v4, v0, vcc
	v_cndmask_b32_e64 v3, v3, v16, s[28:29]
	v_cndmask_b32_e64 v2, v2, v0, s[28:29]
	s_mov_b64 vcc, s[30:31]
	s_cbranch_vccnz .LBB10_193
; %bb.194:                              ;   in Loop: Header=BB10_192 Depth=3
	v_add_co_u32_e32 v2, vcc, v2, v40
	v_addc_co_u32_e32 v3, vcc, v3, v55, vcc
	v_add_co_u32_e32 v4, vcc, v4, v40
	v_addc_co_u32_e32 v5, vcc, v5, v55, vcc
	v_sub_u32_e32 v1, v1, v25
	v_cmp_gt_i32_e32 vcc, 1, v1
	s_or_b64 s[60:61], vcc, s[60:61]
	v_add_co_u32_e32 v14, vcc, v8, v14
	v_addc_co_u32_e32 v15, vcc, v9, v15, vcc
	s_andn2_b64 exec, exec, s[60:61]
	s_cbranch_execnz .LBB10_192
.LBB10_195:                             ;   in Loop: Header=BB10_86 Depth=2
	s_or_b64 exec, exec, s[36:37]
	s_or_b64 exec, exec, s[34:35]
	s_branch .LBB10_157
.LBB10_196:                             ;   in Loop: Header=BB10_86 Depth=2
	s_mov_b64 s[28:29], -1
	s_and_saveexec_b64 s[30:31], s[18:19]
	s_cbranch_execz .LBB10_198
; %bb.197:                              ;   in Loop: Header=BB10_86 Depth=2
	ds_read_b32 v0, v0 offset:720
	s_waitcnt lgkmcnt(0)
	v_and_b32_e32 v0, 15, v0
	v_cmp_eq_u32_e32 vcc, 0, v0
	s_orn2_b64 s[28:29], vcc, exec
.LBB10_198:                             ;   in Loop: Header=BB10_86 Depth=2
	s_or_b64 exec, exec, s[30:31]
	s_and_saveexec_b64 s[30:31], s[18:19]
	s_cbranch_execz .LBB10_200
; %bb.199:                              ;   in Loop: Header=BB10_86 Depth=2
	ds_read_b32 v0, v0 offset:784
	s_waitcnt lgkmcnt(0)
	v_and_b32_e32 v0, 15, v0
	v_cmp_eq_u32_e32 vcc, 0, v0
	s_and_b64 vcc, s[28:29], vcc
	s_andn2_b64 s[28:29], s[28:29], exec
	s_and_b64 vcc, vcc, exec
	s_or_b64 s[28:29], s[28:29], vcc
.LBB10_200:                             ;   in Loop: Header=BB10_86 Depth=2
	s_or_b64 exec, exec, s[30:31]
	s_xor_b64 s[28:29], s[28:29], -1
	v_cndmask_b32_e64 v0, 0, 1, s[28:29]
	s_mov_b64 s[34:35], -1
	;;#ASMSTART
	;;#ASMEND
	v_cmp_ne_u32_e32 vcc, 0, v0
	v_mov_b32_e32 v1, 0
	v_mov_b32_e32 v10, v59
	;; [unrolled: 1-line block ×4, first 2 shown]
	s_cbranch_vccz .LBB10_203
; %bb.201:                              ;   in Loop: Header=BB10_86 Depth=2
	s_and_saveexec_b64 s[28:29], s[34:35]
	s_cbranch_execnz .LBB10_216
.LBB10_202:                             ;   in Loop: Header=BB10_86 Depth=2
	s_or_b64 exec, exec, s[28:29]
	s_and_saveexec_b64 s[28:29], s[10:11]
	s_cbranch_execz .LBB10_232
	s_branch .LBB10_158
.LBB10_203:                             ;   in Loop: Header=BB10_86 Depth=2
	v_ashrrev_i32_e32 v0, 31, v59
	v_lshrrev_b32_e32 v0, 21, v0
	v_add_u32_e32 v0, v59, v0
	v_ashrrev_i32_e32 v1, 11, v0
	v_sub_u32_e32 v15, v1, v53
	v_cmp_lt_i32_e32 vcc, 0, v15
	s_and_saveexec_b64 s[28:29], vcc
	s_cbranch_execz .LBB10_207
; %bb.204:                              ;   in Loop: Header=BB10_86 Depth=2
	s_trap 2
	ds_read_b64 v[2:3], v0
	v_accvgpr_read_b32 v4, a32
	s_mov_b64 s[30:31], 0
	v_accvgpr_read_b32 v5, a33
.LBB10_205:                             ;   Parent Loop BB10_81 Depth=1
                                        ;     Parent Loop BB10_86 Depth=2
                                        ; =>    This Inner Loop Header: Depth=3
	s_waitcnt lgkmcnt(0)
	v_add_co_u32_e32 v22, vcc, v2, v4
	v_addc_co_u32_e32 v23, vcc, v3, v5, vcc
	global_load_dwordx4 v[16:19], v[22:23], off glc slc
	global_load_dwordx4 v[44:47], v[22:23], off offset:1024 glc slc
	v_add_co_u32_e32 v4, vcc, v4, v20
	v_sub_u32_e32 v15, v15, v50
	v_addc_co_u32_e32 v5, vcc, v5, v21, vcc
	v_cmp_gt_i32_e32 vcc, 1, v15
	s_or_b64 s[30:31], vcc, s[30:31]
	s_waitcnt vmcnt(0)
	global_store_dwordx4 v[22:23], v[16:19], off glc slc
	global_store_dwordx4 v[22:23], v[44:47], off offset:1024 glc slc
	s_andn2_b64 exec, exec, s[30:31]
	s_cbranch_execnz .LBB10_205
; %bb.206:                              ;   in Loop: Header=BB10_86 Depth=2
	s_or_b64 exec, exec, s[30:31]
.LBB10_207:                             ;   in Loop: Header=BB10_86 Depth=2
	s_or_b64 exec, exec, s[28:29]
	v_lshlrev_b32_e32 v14, 11, v1
	v_cmp_ne_u32_e32 vcc, v59, v14
	s_mov_b64 s[34:35], 0
	v_mov_b32_e32 v1, 0
                                        ; implicit-def: $vgpr10
                                        ; implicit-def: $vgpr16
                                        ; implicit-def: $vgpr4
	s_and_saveexec_b64 s[30:31], vcc
	s_cbranch_execz .LBB10_215
; %bb.208:                              ;   in Loop: Header=BB10_86 Depth=2
	v_lshlrev_b32_e32 v1, 6, v15
	v_accvgpr_read_b32 v2, a28
	v_sub_u32_e32 v1, v2, v1
	v_ashrrev_i32_e32 v2, 31, v1
	v_lshrrev_b32_e32 v2, 26, v2
	v_add_u32_e32 v2, v1, v2
	v_sub_u32_e32 v0, v59, v14
	v_ashrrev_i32_e32 v3, 6, v2
	v_and_b32_e32 v2, 0xffffffc0, v2
	v_sub_u32_e32 v15, v1, v2
	v_ashrrev_i32_e32 v2, 31, v0
	v_lshrrev_b32_e32 v2, 22, v2
	v_add_u32_e32 v2, v0, v2
	v_and_b32_e32 v17, 0xfffffc00, v2
	v_lshlrev_b32_e32 v1, 4, v15
	v_sub_u32_e32 v19, v0, v17
	v_lshl_add_u32 v4, v3, 10, v1
	v_ashrrev_i32_e32 v5, 10, v2
	v_cmp_lt_i32_e32 vcc, 15, v19
	v_sub_u32_e32 v1, v0, v4
	v_addc_co_u32_e64 v0, s[28:29], 0, v5, vcc
	v_sub_u32_e32 v18, v0, v3
	v_cmp_lt_i32_e64 s[28:29], 15, v1
	s_and_saveexec_b64 s[34:35], s[28:29]
	s_cbranch_execz .LBB10_212
; %bb.209:                              ;   in Loop: Header=BB10_86 Depth=2
	s_trap 2
	ds_read_b64 v[2:3], v0
	v_add_u32_e32 v4, v4, v14
	v_ashrrev_i32_e32 v5, 31, v4
	s_mov_b64 s[36:37], 0
.LBB10_210:                             ;   Parent Loop BB10_81 Depth=1
                                        ;     Parent Loop BB10_86 Depth=2
                                        ; =>    This Inner Loop Header: Depth=3
	s_waitcnt lgkmcnt(0)
	v_add_co_u32_e64 v22, s[28:29], v2, v4
	v_addc_co_u32_e64 v23, s[28:29], v3, v5, s[28:29]
	global_load_dwordx4 v[44:47], v[22:23], off glc slc
	v_add_co_u32_e64 v4, s[28:29], v4, v11
	v_sub_u32_e32 v1, v1, v51
	v_addc_co_u32_e64 v5, s[28:29], v5, v6, s[28:29]
	v_cmp_gt_i32_e64 s[28:29], 16, v1
	v_sub_u32_e32 v18, v18, v50
	s_or_b64 s[36:37], s[28:29], s[36:37]
	s_waitcnt vmcnt(0)
	global_store_dwordx4 v[22:23], v[44:47], off glc slc
	s_andn2_b64 exec, exec, s[36:37]
	s_cbranch_execnz .LBB10_210
; %bb.211:                              ;   in Loop: Header=BB10_86 Depth=2
	s_or_b64 exec, exec, s[36:37]
.LBB10_212:                             ;   in Loop: Header=BB10_86 Depth=2
	s_or_b64 exec, exec, s[34:35]
	v_and_b32_e32 v2, 15, v59
	v_cndmask_b32_e32 v10, v19, v2, vcc
	v_cmp_ne_u32_e64 s[28:29], 0, v10
	s_mov_b64 s[34:35], 0
	v_mov_b32_e32 v1, 0
                                        ; implicit-def: $vgpr16
                                        ; implicit-def: $vgpr4
	s_and_saveexec_b64 s[36:37], s[28:29]
	s_cbranch_execz .LBB10_214
; %bb.213:                              ;   in Loop: Header=BB10_86 Depth=2
	v_sub_u32_e32 v0, v19, v2
	v_cndmask_b32_e32 v0, 0, v0, vcc
	v_cmp_lt_i32_e32 vcc, 0, v18
	v_add3_u32 v1, v17, v14, v0
	v_cndmask_b32_e32 v0, 0, v50, vcc
	v_sub_u32_e32 v0, v0, v18
	v_lshl_add_u32 v16, v0, 6, v15
	v_ashrrev_i32_e32 v0, 31, v16
	v_lshrrev_b32_e32 v0, 26, v0
	v_add_u32_e32 v0, v16, v0
	s_mov_b64 s[34:35], exec
	v_ashrrev_i32_e32 v4, 6, v0
.LBB10_214:                             ;   in Loop: Header=BB10_86 Depth=2
	s_or_b64 exec, exec, s[36:37]
	s_and_b64 s[34:35], s[34:35], exec
.LBB10_215:                             ;   in Loop: Header=BB10_86 Depth=2
	s_or_b64 exec, exec, s[30:31]
	s_and_saveexec_b64 s[28:29], s[34:35]
	s_cbranch_execz .LBB10_202
.LBB10_216:                             ;   in Loop: Header=BB10_86 Depth=2
	v_ashrrev_i32_e32 v0, 31, v10
	v_lshrrev_b32_e32 v0, 22, v0
	v_add_u32_e32 v0, v10, v0
	v_ashrrev_i32_e32 v18, 10, v0
	v_sub_u32_e32 v17, v18, v4
	v_cmp_lt_i32_e32 vcc, 0, v17
	s_and_saveexec_b64 s[30:31], vcc
	s_cbranch_execz .LBB10_220
; %bb.217:                              ;   in Loop: Header=BB10_86 Depth=2
	s_trap 2
	ds_read_b64 v[2:3], v0
	v_ashrrev_i32_e32 v0, 31, v16
	v_lshrrev_b32_e32 v0, 26, v0
	v_add_u32_e32 v0, v16, v0
	v_and_b32_e32 v0, 0xffffffc0, v0
	v_sub_u32_e32 v0, v16, v0
	v_lshlrev_b32_e32 v4, 10, v4
	v_add3_u32 v4, v1, v0, v4
	v_ashrrev_i32_e32 v5, 31, v4
	s_mov_b64 s[34:35], 0
	s_waitcnt lgkmcnt(0)
	v_pk_mov_b32 v[14:15], v[2:3], v[2:3] op_sel:[0,1]
.LBB10_218:                             ;   Parent Loop BB10_81 Depth=1
                                        ;     Parent Loop BB10_86 Depth=2
                                        ; =>    This Inner Loop Header: Depth=3
	v_add_co_u32_e32 v22, vcc, v4, v14
	v_addc_co_u32_e32 v23, vcc, v5, v15, vcc
	flat_load_ubyte v0, v[22:23] glc slc
	flat_load_ubyte v19, v[22:23] offset:64 glc slc
	flat_load_ubyte v24, v[22:23] offset:128 glc slc
	;; [unrolled: 1-line block ×15, first 2 shown]
	v_add_co_u32_e32 v22, vcc, v4, v2
	v_addc_co_u32_e32 v23, vcc, v5, v3, vcc
	v_add_co_u32_e32 v14, vcc, v14, v11
	v_addc_co_u32_e32 v15, vcc, v15, v6, vcc
	v_add_co_u32_e32 v2, vcc, v2, v11
	v_sub_u32_e32 v17, v17, v50
	v_addc_co_u32_e32 v3, vcc, v3, v6, vcc
	v_cmp_gt_i32_e32 vcc, 1, v17
	s_or_b64 s[34:35], vcc, s[34:35]
	s_waitcnt vmcnt(0) lgkmcnt(0)
	flat_store_byte v[22:23], v0 glc slc
	flat_store_byte v[22:23], v19 offset:64 glc slc
	flat_store_byte v[22:23], v24 offset:128 glc slc
	;; [unrolled: 1-line block ×15, first 2 shown]
	s_andn2_b64 exec, exec, s[34:35]
	s_cbranch_execnz .LBB10_218
; %bb.219:                              ;   in Loop: Header=BB10_86 Depth=2
	s_or_b64 exec, exec, s[34:35]
	v_accvgpr_read_b32 v61, a37
	v_accvgpr_read_b32 v51, a24
	;; [unrolled: 1-line block ×7, first 2 shown]
.LBB10_220:                             ;   in Loop: Header=BB10_86 Depth=2
	s_or_b64 exec, exec, s[30:31]
	v_lshlrev_b32_e32 v2, 10, v18
	v_cmp_ne_u32_e32 vcc, v10, v2
	s_and_saveexec_b64 s[30:31], vcc
	s_cbranch_execz .LBB10_224
; %bb.221:                              ;   in Loop: Header=BB10_86 Depth=2
	v_ashrrev_i32_e32 v0, 31, v16
	v_lshrrev_b32_e32 v0, 26, v0
	v_add_u32_e32 v0, v16, v0
	v_and_b32_e32 v0, 0xffffffc0, v0
	v_sub_u32_e32 v0, v16, v0
	v_lshlrev_b32_e32 v3, 6, v17
	v_sub_u32_e32 v0, v0, v3
	v_add_u32_e32 v4, v2, v0
	v_sub_u32_e32 v10, v10, v4
	v_cmp_lt_i32_e32 vcc, 0, v10
	s_and_b64 exec, exec, vcc
	s_cbranch_execz .LBB10_224
; %bb.222:                              ;   in Loop: Header=BB10_86 Depth=2
	s_trap 2
	ds_read_b64 v[2:3], v0
	v_add_u32_e32 v4, v4, v1
	v_ashrrev_i32_e32 v5, 31, v4
	s_mov_b64 s[34:35], 0
.LBB10_223:                             ;   Parent Loop BB10_81 Depth=1
                                        ;     Parent Loop BB10_86 Depth=2
                                        ; =>    This Inner Loop Header: Depth=3
	s_waitcnt lgkmcnt(0)
	v_add_co_u32_e32 v14, vcc, v2, v4
	v_addc_co_u32_e32 v15, vcc, v3, v5, vcc
	flat_load_ubyte v0, v[14:15] glc slc
	v_add_co_u32_e32 v4, vcc, v4, v8
	v_sub_u32_e32 v10, v10, v25
	v_addc_co_u32_e32 v5, vcc, v5, v9, vcc
	v_cmp_gt_i32_e32 vcc, 1, v10
	s_or_b64 s[34:35], vcc, s[34:35]
	s_waitcnt vmcnt(0) lgkmcnt(0)
	flat_store_byte v[14:15], v0 glc slc
	s_andn2_b64 exec, exec, s[34:35]
	s_cbranch_execnz .LBB10_223
.LBB10_224:                             ;   in Loop: Header=BB10_86 Depth=2
	s_or_b64 exec, exec, s[30:31]
	s_or_b64 exec, exec, s[28:29]
	s_and_saveexec_b64 s[28:29], s[10:11]
	s_cbranch_execz .LBB10_232
	s_branch .LBB10_158
.LBB10_225:                             ;   in Loop: Header=BB10_86 Depth=2
	s_or_b64 exec, exec, s[60:61]
	s_and_saveexec_b64 vcc, s[62:63]
	s_xor_b64 vcc, exec, vcc
	s_cbranch_execz .LBB10_227
; %bb.226:                              ;   in Loop: Header=BB10_86 Depth=2
	ds_write_b32 v0, v42
	s_trap 2
.LBB10_227:                             ;   in Loop: Header=BB10_86 Depth=2
	s_or_b64 exec, exec, s[36:37]
	;;#ASMSTART
	s_wakeup
	;;#ASMEND
.LBB10_228:                             ;   in Loop: Header=BB10_86 Depth=2
	s_or_b64 exec, exec, s[34:35]
.LBB10_229:                             ;   in Loop: Header=BB10_86 Depth=2
	s_andn2_saveexec_b64 vcc, s[30:31]
	s_cbranch_execz .LBB10_231
; %bb.230:                              ;   in Loop: Header=BB10_86 Depth=2
	s_waitcnt vmcnt(0) lgkmcnt(0)
	buffer_wbinvl1_vol
	s_barrier
.LBB10_231:                             ;   in Loop: Header=BB10_86 Depth=2
	s_or_b64 exec, exec, vcc
.LBB10_232:                             ;   in Loop: Header=BB10_86 Depth=2
	s_or_b64 exec, exec, s[28:29]
	v_and_b32_e32 v1, 16, v62
	s_and_saveexec_b64 s[28:29], s[24:25]
	s_xor_b64 s[30:31], exec, s[28:29]
	s_cbranch_execz .LBB10_237
; %bb.233:                              ;   in Loop: Header=BB10_86 Depth=2
	v_and_b32_e32 v0, 16, v62
	v_cmp_lt_i32_e32 vcc, 0, v59
	v_cmp_ne_u32_e64 s[28:29], 0, v0
	v_and_b32_e32 v1, 16, v62
	s_and_b64 vcc, s[28:29], vcc
	s_and_saveexec_b64 s[28:29], vcc
	s_cbranch_execz .LBB10_235
; %bb.234:                              ;   in Loop: Header=BB10_86 Depth=2
	v_mov_b32_e32 v1, 1
	s_waitcnt vmcnt(0) lgkmcnt(0)
	buffer_wbinvl1_vol
.LBB10_235:                             ;   in Loop: Header=BB10_86 Depth=2
	s_or_b64 exec, exec, s[28:29]
	s_andn2_saveexec_b64 s[28:29], s[30:31]
	s_cbranch_execnz .LBB10_238
.LBB10_236:                             ;   in Loop: Header=BB10_86 Depth=2
	s_or_b64 exec, exec, s[28:29]
	v_cmp_ne_u32_e32 vcc, 0, v1
	s_and_saveexec_b64 s[28:29], vcc
	s_cbranch_execz .LBB10_85
	s_branch .LBB10_256
.LBB10_237:                             ;   in Loop: Header=BB10_86 Depth=2
	s_andn2_saveexec_b64 s[28:29], s[30:31]
	s_cbranch_execz .LBB10_236
.LBB10_238:                             ;   in Loop: Header=BB10_86 Depth=2
	s_and_saveexec_b64 vcc, s[46:47]
	s_xor_b64 s[30:31], exec, vcc
	s_cbranch_execz .LBB10_253
; %bb.239:                              ;   in Loop: Header=BB10_86 Depth=2
	s_and_saveexec_b64 s[34:35], s[16:17]
	s_cbranch_execz .LBB10_252
; %bb.240:                              ;   in Loop: Header=BB10_86 Depth=2
	s_mov_b64 s[60:61], exec
	v_mbcnt_lo_u32_b32 v0, s60, 0
	v_mbcnt_hi_u32_b32 v0, s61, v0
	v_cmp_eq_u32_e32 vcc, 0, v0
	;;#ASMSTART
	s_waitcnt lgkmcnt(0) vmcnt(0)
	;;#ASMEND
	s_and_saveexec_b64 s[36:37], vcc
	s_cbranch_execz .LBB10_242
; %bb.241:                              ;   in Loop: Header=BB10_86 Depth=2
	s_bcnt1_i32_b64 vcc_lo, s[60:61]
	v_mov_b32_e32 v48, vcc_lo
	ds_add_u64 v0, v[48:49]
	s_trap 2
.LBB10_242:                             ;   in Loop: Header=BB10_86 Depth=2
	s_or_b64 exec, exec, s[36:37]
	s_trap 2
	ds_read_b64 v[2:3], v0
	v_add_co_u32_e32 v34, vcc, v34, v50
	v_addc_co_u32_e32 v35, vcc, 0, v35, vcc
	s_waitcnt lgkmcnt(0)
	v_cmp_lt_u64_e32 vcc, v[2:3], v[34:35]
	s_and_saveexec_b64 s[36:37], vcc
	s_cbranch_execz .LBB10_251
; %bb.243:                              ;   in Loop: Header=BB10_86 Depth=2
	s_mov_b32 s77, 0
	s_mov_b64 s[60:61], 0
                                        ; implicit-def: $sgpr62_sgpr63
                                        ; implicit-def: $sgpr64_sgpr65
	s_branch .LBB10_245
.LBB10_244:                             ;   in Loop: Header=BB10_245 Depth=3
	s_or_b64 exec, exec, s[68:69]
	s_and_b64 vcc, exec, vcc
	s_or_b64 s[60:61], vcc, s[60:61]
	s_andn2_b64 vcc, s[62:63], exec
	s_and_b64 s[62:63], s[64:65], exec
	s_or_b64 s[62:63], vcc, s[62:63]
	s_andn2_b64 exec, exec, s[60:61]
	s_cbranch_execz .LBB10_249
.LBB10_245:                             ;   Parent Loop BB10_81 Depth=1
                                        ;     Parent Loop BB10_86 Depth=2
                                        ; =>    This Inner Loop Header: Depth=3
	s_add_i32 s77, s77, 1
	s_cmpk_lg_i32 s77, 0x2710
	s_cselect_b64 s[66:67], -1, 0
	s_and_b64 vcc, exec, s[66:67]
                                        ; implicit-def: $sgpr68_sgpr69
	s_cbranch_vccnz .LBB10_247
; %bb.246:                              ;   in Loop: Header=BB10_245 Depth=3
	s_trap 2
	ds_read_b64 v[2:3], v0
	s_andn2_b64 s[66:67], s[66:67], exec
	s_mov_b32 s77, 0
	s_mov_b64 s[68:69], -1
	s_waitcnt vmcnt(0) lgkmcnt(0)
	flat_load_dword v0, v[2:3] glc
	s_waitcnt vmcnt(0) lgkmcnt(0)
	buffer_invl2
	buffer_wbinvl1_vol
	v_cmp_eq_u32_e32 vcc, 0, v0
	s_and_b64 vcc, vcc, exec
	s_or_b64 s[66:67], s[66:67], vcc
.LBB10_247:                             ;   in Loop: Header=BB10_245 Depth=3
	s_andn2_b64 s[64:65], s[64:65], exec
	s_and_b64 s[68:69], s[68:69], exec
	s_mov_b64 vcc, -1
	s_or_b64 s[64:65], s[64:65], s[68:69]
	s_and_saveexec_b64 s[68:69], s[66:67]
	s_cbranch_execz .LBB10_244
; %bb.248:                              ;   in Loop: Header=BB10_245 Depth=3
	s_sleep 1
	s_trap 2
	ds_read_b64 v[2:3], v0
	s_andn2_b64 s[64:65], s[64:65], exec
	s_waitcnt lgkmcnt(0)
	v_cmp_ge_u64_e32 vcc, v[2:3], v[34:35]
	s_orn2_b64 vcc, vcc, exec
	s_branch .LBB10_244
.LBB10_249:                             ;   in Loop: Header=BB10_86 Depth=2
	s_or_b64 exec, exec, s[60:61]
	s_and_saveexec_b64 vcc, s[62:63]
	s_xor_b64 vcc, exec, vcc
	s_cbranch_execz .LBB10_251
; %bb.250:                              ;   in Loop: Header=BB10_86 Depth=2
	ds_write_b32 v0, v42
	s_trap 2
.LBB10_251:                             ;   in Loop: Header=BB10_86 Depth=2
	s_or_b64 exec, exec, s[36:37]
	;;#ASMSTART
	s_wakeup
	;;#ASMEND
.LBB10_252:                             ;   in Loop: Header=BB10_86 Depth=2
	s_or_b64 exec, exec, s[34:35]
.LBB10_253:                             ;   in Loop: Header=BB10_86 Depth=2
	s_andn2_saveexec_b64 vcc, s[30:31]
	s_cbranch_execz .LBB10_255
; %bb.254:                              ;   in Loop: Header=BB10_86 Depth=2
	;;#ASMSTART
	s_waitcnt lgkmcnt(0) vmcnt(0)
	;;#ASMEND
	s_barrier
.LBB10_255:                             ;   in Loop: Header=BB10_86 Depth=2
	s_or_b64 exec, exec, vcc
	s_or_b64 exec, exec, s[28:29]
	v_cmp_ne_u32_e32 vcc, 0, v1
	s_and_saveexec_b64 s[28:29], vcc
	s_cbranch_execz .LBB10_85
.LBB10_256:                             ;   in Loop: Header=BB10_86 Depth=2
	s_and_saveexec_b64 vcc, s[14:15]
	s_cbranch_execz .LBB10_84
; %bb.257:                              ;   in Loop: Header=BB10_86 Depth=2
	flat_store_dword v[36:37], v42
	s_branch .LBB10_84
.LBB10_258:                             ;   in Loop: Header=BB10_81 Depth=1
	s_andn2_saveexec_b64 s[30:31], s[52:53]
	s_cbranch_execz .LBB10_546
.LBB10_259:                             ;   in Loop: Header=BB10_81 Depth=1
	v_mov_b32_e32 v1, 0
	v_mov_b32_e32 v2, v56
	v_mov_b32_e32 v22, 0
	s_and_saveexec_b64 s[34:35], s[26:27]
	s_cbranch_execz .LBB10_473
; %bb.260:                              ;   in Loop: Header=BB10_81 Depth=1
	s_mov_b32 s76, 1
	s_mov_b64 s[52:53], -1
	s_mov_b64 s[36:37], 0
	v_mov_b32_e32 v22, 0
	v_mov_b32_e32 v2, v56
	s_branch .LBB10_263
.LBB10_261:                             ;   in Loop: Header=BB10_263 Depth=2
	s_or_b64 exec, exec, vcc
	v_add_co_u32_e32 v26, vcc, 2, v26
	v_addc_co_u32_e32 v27, vcc, 0, v27, vcc
	flat_store_dwordx2 v[28:29], v[26:27]
.LBB10_262:                             ;   in Loop: Header=BB10_263 Depth=2
	s_or_b64 exec, exec, s[28:29]
	v_add_u32_e32 v22, v2, v22
	v_cmp_ge_i32_e32 vcc, v22, v7
	s_xor_b64 s[28:29], s[52:53], -1
	s_or_b64 s[28:29], s[28:29], vcc
	s_and_b64 s[28:29], exec, s[28:29]
	s_or_b64 s[36:37], s[28:29], s[36:37]
	s_mov_b64 s[52:53], 0
	v_mov_b32_e32 v1, s76
	s_mov_b32 s76, 2
	s_andn2_b64 exec, exec, s[36:37]
	s_cbranch_execz .LBB10_472
.LBB10_263:                             ;   Parent Loop BB10_81 Depth=1
                                        ; =>  This Loop Header: Depth=2
                                        ;       Child Loop BB10_271 Depth 3
                                        ;       Child Loop BB10_295 Depth 3
	;; [unrolled: 1-line block ×9, first 2 shown]
	s_and_saveexec_b64 s[28:29], s[4:5]
	s_cbranch_execz .LBB10_265
; %bb.264:                              ;   in Loop: Header=BB10_263 Depth=2
	s_trap 2
	ds_read_b64 v[4:5], v0
	v_accvgpr_read_b32 v14, a34
	v_accvgpr_read_b32 v15, a35
	v_mov_b32_e32 v48, v49
	ds_write_b64 v0, v[48:49]
	s_waitcnt lgkmcnt(0)
	v_add_co_u32_e32 v1, vcc, v4, v14
	v_addc_co_u32_e32 v3, vcc, v5, v15, vcc
	v_ashrrev_i32_e32 v5, 31, v22
	v_add_co_u32_e32 v4, vcc, v1, v22
	v_addc_co_u32_e32 v5, vcc, v3, v5, vcc
	ds_write_b64 v0, v[4:5]
.LBB10_265:                             ;   in Loop: Header=BB10_263 Depth=2
	s_or_b64 exec, exec, s[28:29]
	v_and_b32_e32 v1, 8, v62
	v_cmp_ne_u32_e32 vcc, 0, v1
	s_mov_b64 s[54:55], -1
	s_and_saveexec_b64 s[28:29], vcc
	s_cbranch_execz .LBB10_277
; %bb.266:                              ;   in Loop: Header=BB10_263 Depth=2
	v_add_co_u32_e32 v14, vcc, 8, v38
	v_addc_co_u32_e32 v15, vcc, 0, v39, vcc
	v_add_co_u32_e32 v4, vcc, 2, v26
	v_addc_co_u32_e32 v5, vcc, 0, v27, vcc
	v_cmp_lt_u64_e32 vcc, v[14:15], v[4:5]
	v_mov_b32_e32 v1, 1
	s_and_saveexec_b64 s[54:55], vcc
	s_cbranch_execz .LBB10_276
; %bb.267:                              ;   in Loop: Header=BB10_263 Depth=2
	s_mov_b64 s[56:57], 0
	v_mov_b32_e32 v1, 0
                                        ; implicit-def: $sgpr58_sgpr59
	s_branch .LBB10_271
.LBB10_268:                             ;   in Loop: Header=BB10_271 Depth=3
	s_or_b64 exec, exec, s[66:67]
	v_mov_b32_e32 v3, 0
	s_orn2_b64 s[64:65], s[64:65], exec
.LBB10_269:                             ;   in Loop: Header=BB10_271 Depth=3
	s_or_b64 exec, exec, s[62:63]
	s_andn2_b64 vcc, s[58:59], exec
	s_and_b64 s[58:59], s[64:65], exec
	s_or_b64 s[58:59], vcc, s[58:59]
	v_mov_b32_e32 v1, v3
.LBB10_270:                             ;   in Loop: Header=BB10_271 Depth=3
	s_or_b64 exec, exec, s[60:61]
	s_waitcnt vmcnt(0) lgkmcnt(0)
	v_add_co_u32_e32 v14, vcc, 8, v38
	v_addc_co_u32_e32 v15, vcc, 0, v39, vcc
	v_cmp_ge_u64_e32 vcc, v[14:15], v[4:5]
	s_xor_b64 s[60:61], s[58:59], -1
	s_or_b64 vcc, s[60:61], vcc
	s_and_b64 vcc, exec, vcc
	s_or_b64 s[56:57], vcc, s[56:57]
	s_andn2_b64 exec, exec, s[56:57]
	s_cbranch_execz .LBB10_275
.LBB10_271:                             ;   Parent Loop BB10_81 Depth=1
                                        ;     Parent Loop BB10_263 Depth=2
                                        ; =>    This Inner Loop Header: Depth=3
	s_sleep 1
	flat_load_dwordx2 v[38:39], v[28:29] glc
	v_and_b32_e32 v3, 64, v62
	v_cmp_eq_u32_e32 vcc, 0, v3
	s_andn2_b64 s[58:59], s[58:59], exec
	s_and_saveexec_b64 s[60:61], vcc
	s_cbranch_execz .LBB10_270
; %bb.272:                              ;   in Loop: Header=BB10_271 Depth=3
	v_add_u32_e32 v3, 1, v1
	v_cmp_lt_i32_e32 vcc, s72, v1
	s_mov_b64 s[64:65], -1
	s_and_saveexec_b64 s[62:63], vcc
	s_cbranch_execz .LBB10_269
; %bb.273:                              ;   in Loop: Header=BB10_271 Depth=3
	s_trap 2
	ds_read_b64 v[14:15], v0
	s_waitcnt vmcnt(0) lgkmcnt(0)
	flat_load_dword v1, v[14:15] glc
	s_waitcnt vmcnt(0) lgkmcnt(0)
	buffer_invl2
	buffer_wbinvl1_vol
	v_cmp_ne_u32_e32 vcc, 0, v1
	s_and_saveexec_b64 s[66:67], vcc
	s_cbranch_execz .LBB10_268
; %bb.274:                              ;   in Loop: Header=BB10_271 Depth=3
	v_or_b32_e32 v62, 64, v62
	s_xor_b64 s[64:65], exec, -1
	ds_write_b32 v0, v1
	s_trap 2
	s_branch .LBB10_268
.LBB10_275:                             ;   in Loop: Header=BB10_263 Depth=2
	s_or_b64 exec, exec, s[56:57]
	v_and_b32_e32 v1, 8, v62
.LBB10_276:                             ;   in Loop: Header=BB10_263 Depth=2
	s_or_b64 exec, exec, s[54:55]
	v_cmp_eq_u32_e32 vcc, 0, v1
	s_orn2_b64 s[54:55], vcc, exec
	;;#ASMSTART
	s_wakeup
	;;#ASMEND
.LBB10_277:                             ;   in Loop: Header=BB10_263 Depth=2
	s_or_b64 exec, exec, s[28:29]
	v_sub_u32_e32 v1, v7, v22
	s_xor_b64 s[28:29], s[54:55], -1
	v_min_i32_e32 v2, v2, v1
	s_and_saveexec_b64 s[54:55], s[28:29]
	s_cbranch_execz .LBB10_287
; %bb.278:                              ;   in Loop: Header=BB10_263 Depth=2
	v_and_b32_e32 v1, 0x100, v62
	v_cmp_ne_u32_e32 vcc, 0, v1
	v_and_b32_e32 v1, 7, v26
	s_mov_b64 s[28:29], -1
                                        ; implicit-def: $vgpr4_vgpr5
	s_and_saveexec_b64 s[56:57], vcc
	s_cbranch_execz .LBB10_282
; %bb.279:                              ;   in Loop: Header=BB10_263 Depth=2
	v_mad_u64_u32 v[14:15], s[28:29], v1, 24, v[12:13]
	flat_load_dword v4, v[14:15]
	v_ashrrev_i32_e32 v3, 31, v2
	flat_store_dwordx2 v[14:15], v[2:3] offset:8
	s_waitcnt vmcnt(0) lgkmcnt(0)
	v_cmp_ne_u32_e32 vcc, 1, v4
	v_cmp_eq_u32_e64 s[28:29], 1, v4
                                        ; implicit-def: $vgpr4_vgpr5
	s_and_saveexec_b64 s[58:59], s[28:29]
	s_cbranch_execz .LBB10_281
; %bb.280:                              ;   in Loop: Header=BB10_263 Depth=2
	flat_load_dword v4, v[14:15] offset:4 glc
	s_waitcnt vmcnt(0) lgkmcnt(0)
	v_ashrrev_i32_e32 v5, 31, v4
.LBB10_281:                             ;   in Loop: Header=BB10_263 Depth=2
	s_or_b64 exec, exec, s[58:59]
	s_orn2_b64 s[28:29], vcc, exec
.LBB10_282:                             ;   in Loop: Header=BB10_263 Depth=2
	s_or_b64 exec, exec, s[56:57]
	s_and_saveexec_b64 vcc, s[28:29]
; %bb.283:                              ;   in Loop: Header=BB10_263 Depth=2
	v_mad_i64_i32 v[4:5], s[28:29], v1, v30, 0
; %bb.284:                              ;   in Loop: Header=BB10_263 Depth=2
	s_or_b64 exec, exec, vcc
	v_add_co_u32_e32 v4, vcc, v32, v4
	v_addc_co_u32_e32 v5, vcc, v33, v5, vcc
	v_and_b32_e32 v1, 0x2000, v62
	v_cmp_ne_u32_e32 vcc, 0, v1
	ds_write_b64 v0, v[4:5] offset:784
	s_and_saveexec_b64 s[28:29], vcc
	s_cbranch_execz .LBB10_286
; %bb.285:                              ;   in Loop: Header=BB10_263 Depth=2
	ds_read_b64 v[4:5], v0 offset:584
	s_waitcnt lgkmcnt(0)
	v_add_co_u32_e32 v4, vcc, 1, v4
	v_addc_co_u32_e32 v5, vcc, 0, v5, vcc
	ds_write_b64 v0, v[4:5] offset:584
.LBB10_286:                             ;   in Loop: Header=BB10_263 Depth=2
	s_or_b64 exec, exec, s[28:29]
	v_add_co_u32_e32 v26, vcc, 2, v26
	v_addc_co_u32_e32 v27, vcc, 0, v27, vcc
.LBB10_287:                             ;   in Loop: Header=BB10_263 Depth=2
	s_or_b64 exec, exec, s[54:55]
	s_and_saveexec_b64 s[28:29], s[10:11]
	s_cbranch_execz .LBB10_306
; %bb.288:                              ;   in Loop: Header=BB10_263 Depth=2
	s_and_saveexec_b64 vcc, s[46:47]
	s_xor_b64 s[54:55], exec, vcc
	s_cbranch_execz .LBB10_303
; %bb.289:                              ;   in Loop: Header=BB10_263 Depth=2
	s_and_saveexec_b64 s[56:57], s[16:17]
	s_cbranch_execz .LBB10_302
; %bb.290:                              ;   in Loop: Header=BB10_263 Depth=2
	s_mov_b64 s[60:61], exec
	v_mbcnt_lo_u32_b32 v1, s60, 0
	v_mbcnt_hi_u32_b32 v1, s61, v1
	v_cmp_eq_u32_e32 vcc, 0, v1
	s_waitcnt vmcnt(0) lgkmcnt(0)
	buffer_wbinvl1_vol
	s_and_saveexec_b64 s[58:59], vcc
	s_cbranch_execz .LBB10_292
; %bb.291:                              ;   in Loop: Header=BB10_263 Depth=2
	s_bcnt1_i32_b64 vcc_lo, s[60:61]
	v_mov_b32_e32 v48, vcc_lo
	ds_add_u64 v0, v[48:49]
	s_trap 2
.LBB10_292:                             ;   in Loop: Header=BB10_263 Depth=2
	s_or_b64 exec, exec, s[58:59]
	s_trap 2
	ds_read_b64 v[4:5], v0
	v_add_co_u32_e32 v34, vcc, v34, v50
	v_addc_co_u32_e32 v35, vcc, 0, v35, vcc
	s_waitcnt lgkmcnt(0)
	v_cmp_lt_u64_e32 vcc, v[4:5], v[34:35]
	s_and_saveexec_b64 s[58:59], vcc
	s_cbranch_execz .LBB10_301
; %bb.293:                              ;   in Loop: Header=BB10_263 Depth=2
	s_mov_b32 s77, 0
	s_mov_b64 s[60:61], 0
                                        ; implicit-def: $sgpr62_sgpr63
                                        ; implicit-def: $sgpr64_sgpr65
	s_branch .LBB10_295
.LBB10_294:                             ;   in Loop: Header=BB10_295 Depth=3
	s_or_b64 exec, exec, s[68:69]
	s_and_b64 vcc, exec, vcc
	s_or_b64 s[60:61], vcc, s[60:61]
	s_andn2_b64 vcc, s[62:63], exec
	s_and_b64 s[62:63], s[64:65], exec
	s_or_b64 s[62:63], vcc, s[62:63]
	s_andn2_b64 exec, exec, s[60:61]
	s_cbranch_execz .LBB10_299
.LBB10_295:                             ;   Parent Loop BB10_81 Depth=1
                                        ;     Parent Loop BB10_263 Depth=2
                                        ; =>    This Inner Loop Header: Depth=3
	s_add_i32 s77, s77, 1
	s_cmpk_lg_i32 s77, 0x2710
	s_cselect_b64 s[66:67], -1, 0
	s_and_b64 vcc, exec, s[66:67]
                                        ; implicit-def: $sgpr68_sgpr69
	s_cbranch_vccnz .LBB10_297
; %bb.296:                              ;   in Loop: Header=BB10_295 Depth=3
	s_trap 2
	ds_read_b64 v[4:5], v0
	s_andn2_b64 s[66:67], s[66:67], exec
	s_mov_b32 s77, 0
	s_mov_b64 s[68:69], -1
	s_waitcnt lgkmcnt(0)
	flat_load_dword v1, v[4:5] glc
	s_waitcnt vmcnt(0) lgkmcnt(0)
	buffer_invl2
	buffer_wbinvl1_vol
	v_cmp_eq_u32_e32 vcc, 0, v1
	s_and_b64 vcc, vcc, exec
	s_or_b64 s[66:67], s[66:67], vcc
.LBB10_297:                             ;   in Loop: Header=BB10_295 Depth=3
	s_andn2_b64 s[64:65], s[64:65], exec
	s_and_b64 s[68:69], s[68:69], exec
	s_mov_b64 vcc, -1
	s_or_b64 s[64:65], s[64:65], s[68:69]
	s_and_saveexec_b64 s[68:69], s[66:67]
	s_cbranch_execz .LBB10_294
; %bb.298:                              ;   in Loop: Header=BB10_295 Depth=3
	s_sleep 1
	s_trap 2
	ds_read_b64 v[4:5], v0
	s_andn2_b64 s[64:65], s[64:65], exec
	s_waitcnt lgkmcnt(0)
	v_cmp_ge_u64_e32 vcc, v[4:5], v[34:35]
	s_orn2_b64 vcc, vcc, exec
	s_branch .LBB10_294
.LBB10_299:                             ;   in Loop: Header=BB10_263 Depth=2
	s_or_b64 exec, exec, s[60:61]
	s_and_saveexec_b64 vcc, s[62:63]
	s_xor_b64 vcc, exec, vcc
	s_cbranch_execz .LBB10_301
; %bb.300:                              ;   in Loop: Header=BB10_263 Depth=2
	ds_write_b32 v0, v42
	s_trap 2
.LBB10_301:                             ;   in Loop: Header=BB10_263 Depth=2
	s_or_b64 exec, exec, s[58:59]
	;;#ASMSTART
	s_wakeup
	;;#ASMEND
.LBB10_302:                             ;   in Loop: Header=BB10_263 Depth=2
	s_or_b64 exec, exec, s[56:57]
.LBB10_303:                             ;   in Loop: Header=BB10_263 Depth=2
	s_andn2_saveexec_b64 vcc, s[54:55]
	s_cbranch_execz .LBB10_305
; %bb.304:                              ;   in Loop: Header=BB10_263 Depth=2
	s_waitcnt vmcnt(0) lgkmcnt(0)
	buffer_wbinvl1_vol
	s_barrier
.LBB10_305:                             ;   in Loop: Header=BB10_263 Depth=2
	s_or_b64 exec, exec, vcc
.LBB10_306:                             ;   in Loop: Header=BB10_263 Depth=2
	s_or_b64 exec, exec, s[28:29]
	s_trap 2
	ds_read_b32 v3, v0
	v_and_b32_e32 v1, 0x4000, v62
	v_cmp_ne_u32_e32 vcc, 0, v1
	s_xor_b64 s[28:29], s[6:7], -1
	s_and_b64 vcc, s[28:29], vcc
	s_and_saveexec_b64 s[28:29], vcc
	s_cbranch_execz .LBB10_325
; %bb.307:                              ;   in Loop: Header=BB10_263 Depth=2
	s_and_saveexec_b64 vcc, s[46:47]
	s_xor_b64 s[54:55], exec, vcc
	s_cbranch_execz .LBB10_322
; %bb.308:                              ;   in Loop: Header=BB10_263 Depth=2
	s_and_saveexec_b64 s[56:57], s[16:17]
	s_cbranch_execz .LBB10_321
; %bb.309:                              ;   in Loop: Header=BB10_263 Depth=2
	s_mov_b64 s[60:61], exec
	v_mbcnt_lo_u32_b32 v1, s60, 0
	v_mbcnt_hi_u32_b32 v1, s61, v1
	v_cmp_eq_u32_e32 vcc, 0, v1
	s_waitcnt vmcnt(0) lgkmcnt(0)
	buffer_wbinvl1_vol
	s_and_saveexec_b64 s[58:59], vcc
	s_cbranch_execz .LBB10_311
; %bb.310:                              ;   in Loop: Header=BB10_263 Depth=2
	s_bcnt1_i32_b64 vcc_lo, s[60:61]
	v_mov_b32_e32 v48, vcc_lo
	ds_add_u64 v0, v[48:49]
	s_trap 2
.LBB10_311:                             ;   in Loop: Header=BB10_263 Depth=2
	s_or_b64 exec, exec, s[58:59]
	s_trap 2
	ds_read_b64 v[4:5], v0
	v_add_co_u32_e32 v34, vcc, v34, v50
	v_addc_co_u32_e32 v35, vcc, 0, v35, vcc
	s_waitcnt lgkmcnt(0)
	v_cmp_lt_u64_e32 vcc, v[4:5], v[34:35]
	s_and_saveexec_b64 s[58:59], vcc
	s_cbranch_execz .LBB10_320
; %bb.312:                              ;   in Loop: Header=BB10_263 Depth=2
	s_mov_b32 s77, 0
	s_mov_b64 s[60:61], 0
                                        ; implicit-def: $sgpr62_sgpr63
                                        ; implicit-def: $sgpr64_sgpr65
	s_branch .LBB10_314
.LBB10_313:                             ;   in Loop: Header=BB10_314 Depth=3
	s_or_b64 exec, exec, s[68:69]
	s_and_b64 vcc, exec, vcc
	s_or_b64 s[60:61], vcc, s[60:61]
	s_andn2_b64 vcc, s[62:63], exec
	s_and_b64 s[62:63], s[64:65], exec
	s_or_b64 s[62:63], vcc, s[62:63]
	s_andn2_b64 exec, exec, s[60:61]
	s_cbranch_execz .LBB10_318
.LBB10_314:                             ;   Parent Loop BB10_81 Depth=1
                                        ;     Parent Loop BB10_263 Depth=2
                                        ; =>    This Inner Loop Header: Depth=3
	s_add_i32 s77, s77, 1
	s_cmpk_lg_i32 s77, 0x2710
	s_cselect_b64 s[66:67], -1, 0
	s_and_b64 vcc, exec, s[66:67]
                                        ; implicit-def: $sgpr68_sgpr69
	s_cbranch_vccnz .LBB10_316
; %bb.315:                              ;   in Loop: Header=BB10_314 Depth=3
	s_trap 2
	ds_read_b64 v[4:5], v0
	s_andn2_b64 s[66:67], s[66:67], exec
	s_mov_b32 s77, 0
	s_mov_b64 s[68:69], -1
	s_waitcnt lgkmcnt(0)
	flat_load_dword v1, v[4:5] glc
	s_waitcnt vmcnt(0) lgkmcnt(0)
	buffer_invl2
	buffer_wbinvl1_vol
	v_cmp_eq_u32_e32 vcc, 0, v1
	s_and_b64 vcc, vcc, exec
	s_or_b64 s[66:67], s[66:67], vcc
.LBB10_316:                             ;   in Loop: Header=BB10_314 Depth=3
	s_andn2_b64 s[64:65], s[64:65], exec
	s_and_b64 s[68:69], s[68:69], exec
	s_mov_b64 vcc, -1
	s_or_b64 s[64:65], s[64:65], s[68:69]
	s_and_saveexec_b64 s[68:69], s[66:67]
	s_cbranch_execz .LBB10_313
; %bb.317:                              ;   in Loop: Header=BB10_314 Depth=3
	s_sleep 1
	s_trap 2
	ds_read_b64 v[4:5], v0
	s_andn2_b64 s[64:65], s[64:65], exec
	s_waitcnt lgkmcnt(0)
	v_cmp_ge_u64_e32 vcc, v[4:5], v[34:35]
	s_orn2_b64 vcc, vcc, exec
	s_branch .LBB10_313
.LBB10_318:                             ;   in Loop: Header=BB10_263 Depth=2
	s_or_b64 exec, exec, s[60:61]
	s_and_saveexec_b64 vcc, s[62:63]
	s_xor_b64 vcc, exec, vcc
	s_cbranch_execz .LBB10_320
; %bb.319:                              ;   in Loop: Header=BB10_263 Depth=2
	ds_write_b32 v0, v42
	s_trap 2
.LBB10_320:                             ;   in Loop: Header=BB10_263 Depth=2
	s_or_b64 exec, exec, s[58:59]
	;;#ASMSTART
	s_wakeup
	;;#ASMEND
.LBB10_321:                             ;   in Loop: Header=BB10_263 Depth=2
	s_or_b64 exec, exec, s[56:57]
.LBB10_322:                             ;   in Loop: Header=BB10_263 Depth=2
	s_andn2_saveexec_b64 vcc, s[54:55]
	s_cbranch_execz .LBB10_324
; %bb.323:                              ;   in Loop: Header=BB10_263 Depth=2
	s_waitcnt vmcnt(0) lgkmcnt(0)
	buffer_wbinvl1_vol
	s_barrier
.LBB10_324:                             ;   in Loop: Header=BB10_263 Depth=2
	s_or_b64 exec, exec, vcc
.LBB10_325:                             ;   in Loop: Header=BB10_263 Depth=2
	s_or_b64 exec, exec, s[28:29]
	s_trap 2
	ds_read_b64 v[4:5], v0
	v_mov_b32_e32 v23, 0
	s_waitcnt lgkmcnt(0)
	v_readfirstlane_b32 s28, v4
	v_readfirstlane_b32 s29, v5
	s_cmp_eq_u64 s[28:29], 0
	s_cselect_b64 s[28:29], -1, 0
	s_or_b64 s[28:29], s[28:29], s[28:29]
	s_and_b64 vcc, exec, s[28:29]
	s_cbranch_vccnz .LBB10_355
; %bb.326:                              ;   in Loop: Header=BB10_263 Depth=2
	s_mov_b64 s[28:29], -1
	s_and_saveexec_b64 s[54:55], s[18:19]
	s_cbranch_execz .LBB10_328
; %bb.327:                              ;   in Loop: Header=BB10_263 Depth=2
	ds_read_b32 v1, v0 offset:720
	s_waitcnt lgkmcnt(0)
	v_and_b32_e32 v1, 15, v1
	v_cmp_eq_u32_e32 vcc, 0, v1
	s_orn2_b64 s[28:29], vcc, exec
.LBB10_328:                             ;   in Loop: Header=BB10_263 Depth=2
	s_or_b64 exec, exec, s[54:55]
	s_and_saveexec_b64 s[54:55], s[22:23]
	s_cbranch_execz .LBB10_330
; %bb.329:                              ;   in Loop: Header=BB10_263 Depth=2
	ds_read_b32 v1, v0 offset:784
	s_waitcnt lgkmcnt(0)
	v_and_b32_e32 v1, 15, v1
	v_cmp_eq_u32_e32 vcc, 0, v1
	s_and_b64 vcc, s[28:29], vcc
	s_andn2_b64 s[28:29], s[28:29], exec
	s_and_b64 vcc, vcc, exec
	s_or_b64 s[28:29], s[28:29], vcc
.LBB10_330:                             ;   in Loop: Header=BB10_263 Depth=2
	s_or_b64 exec, exec, s[54:55]
	s_xor_b64 s[28:29], s[28:29], -1
	v_cmp_eq_u32_e32 vcc, 0, v3
	v_cndmask_b32_e64 v3, 0, 1, s[28:29]
	v_cndmask_b32_e32 v23, 0, v2, vcc
	;;#ASMSTART
	;;#ASMEND
	v_mov_b32_e32 v1, 0
	s_mov_b64 s[56:57], -1
	v_cmp_ne_u32_e32 vcc, 0, v3
	v_mov_b32_e32 v10, v23
	v_mov_b32_e32 v15, v41
	;; [unrolled: 1-line block ×3, first 2 shown]
	s_cbranch_vccz .LBB10_332
; %bb.331:                              ;   in Loop: Header=BB10_263 Depth=2
	s_and_saveexec_b64 s[28:29], s[56:57]
	s_cbranch_execnz .LBB10_345
	s_branch .LBB10_354
.LBB10_332:                             ;   in Loop: Header=BB10_263 Depth=2
	v_ashrrev_i32_e32 v1, 31, v23
	v_lshrrev_b32_e32 v1, 21, v1
	v_add_u32_e32 v1, v23, v1
	v_ashrrev_i32_e32 v1, 11, v1
	v_sub_u32_e32 v17, v1, v53
	v_cmp_lt_i32_e32 vcc, 0, v17
	s_and_saveexec_b64 s[28:29], vcc
	s_cbranch_execz .LBB10_336
; %bb.333:                              ;   in Loop: Header=BB10_263 Depth=2
	s_trap 2
	ds_read_b64 v[4:5], v0
	v_accvgpr_read_b32 v14, a32
	s_mov_b64 s[54:55], 0
	v_accvgpr_read_b32 v15, a33
.LBB10_334:                             ;   Parent Loop BB10_81 Depth=1
                                        ;     Parent Loop BB10_263 Depth=2
                                        ; =>    This Inner Loop Header: Depth=3
	s_waitcnt lgkmcnt(0)
	v_add_co_u32_e32 v18, vcc, v4, v14
	v_addc_co_u32_e32 v19, vcc, v5, v15, vcc
	global_load_dwordx4 v[58:61], v[18:19], off glc slc
	global_load_dwordx4 v[44:47], v[18:19], off offset:1024 glc slc
	v_add_co_u32_e32 v14, vcc, v14, v20
	v_sub_u32_e32 v17, v17, v50
	v_addc_co_u32_e32 v15, vcc, v15, v21, vcc
	v_cmp_gt_i32_e32 vcc, 1, v17
	s_or_b64 s[54:55], vcc, s[54:55]
	s_waitcnt vmcnt(0)
	global_store_dwordx4 v[18:19], v[58:61], off glc slc
	global_store_dwordx4 v[18:19], v[44:47], off offset:1024 glc slc
	s_andn2_b64 exec, exec, s[54:55]
	s_cbranch_execnz .LBB10_334
; %bb.335:                              ;   in Loop: Header=BB10_263 Depth=2
	s_or_b64 exec, exec, s[54:55]
	v_accvgpr_read_b32 v56, a29
.LBB10_336:                             ;   in Loop: Header=BB10_263 Depth=2
	s_or_b64 exec, exec, s[28:29]
	v_lshlrev_b32_e32 v16, 11, v1
	v_cmp_ne_u32_e32 vcc, v23, v16
	s_mov_b64 s[56:57], 0
	v_mov_b32_e32 v1, 0
                                        ; implicit-def: $vgpr10
                                        ; implicit-def: $vgpr15
                                        ; implicit-def: $vgpr3
	s_and_saveexec_b64 s[54:55], vcc
	s_cbranch_execz .LBB10_344
; %bb.337:                              ;   in Loop: Header=BB10_263 Depth=2
	v_lshlrev_b32_e32 v1, 6, v17
	v_accvgpr_read_b32 v0, a28
	v_sub_u32_e32 v1, v0, v1
	v_sub_u32_e32 v4, v23, v16
	v_ashrrev_i32_e32 v3, 31, v1
	v_lshrrev_b32_e32 v3, 26, v3
	v_ashrrev_i32_e32 v10, 31, v4
	v_add_u32_e32 v3, v1, v3
	v_lshrrev_b32_e32 v10, 22, v10
	v_ashrrev_i32_e32 v5, 6, v3
	v_and_b32_e32 v3, 0xffffffc0, v3
	v_add_u32_e32 v10, v4, v10
	v_sub_u32_e32 v17, v1, v3
	v_and_b32_e32 v18, 0xfffffc00, v10
	v_lshlrev_b32_e32 v1, 4, v17
	v_sub_u32_e32 v31, v4, v18
	v_lshl_add_u32 v3, v5, 10, v1
	v_ashrrev_i32_e32 v14, 10, v10
	v_cmp_lt_i32_e32 vcc, 15, v31
	v_sub_u32_e32 v1, v4, v3
	v_addc_co_u32_e64 v4, s[28:29], 0, v14, vcc
	v_sub_u32_e32 v19, v4, v5
	v_cmp_lt_i32_e64 s[28:29], 15, v1
	s_and_saveexec_b64 s[56:57], s[28:29]
	s_cbranch_execz .LBB10_341
; %bb.338:                              ;   in Loop: Header=BB10_263 Depth=2
	s_trap 2
	ds_read_b64 v[4:5], v0
	v_add_u32_e32 v14, v3, v16
	v_ashrrev_i32_e32 v3, 31, v14
	s_mov_b64 s[58:59], 0
.LBB10_339:                             ;   Parent Loop BB10_81 Depth=1
                                        ;     Parent Loop BB10_263 Depth=2
                                        ; =>    This Inner Loop Header: Depth=3
	s_waitcnt lgkmcnt(0)
	v_add_co_u32_e64 v58, s[28:29], v4, v14
	v_addc_co_u32_e64 v59, s[28:29], v5, v3, s[28:29]
	global_load_dwordx4 v[44:47], v[58:59], off glc slc
	v_add_co_u32_e64 v14, s[28:29], v14, v11
	v_sub_u32_e32 v1, v1, v51
	v_addc_co_u32_e64 v3, s[28:29], v3, v6, s[28:29]
	v_cmp_gt_i32_e64 s[28:29], 16, v1
	v_sub_u32_e32 v19, v19, v50
	s_or_b64 s[58:59], s[28:29], s[58:59]
	s_waitcnt vmcnt(0)
	global_store_dwordx4 v[58:59], v[44:47], off glc slc
	s_andn2_b64 exec, exec, s[58:59]
	s_cbranch_execnz .LBB10_339
; %bb.340:                              ;   in Loop: Header=BB10_263 Depth=2
	s_or_b64 exec, exec, s[58:59]
.LBB10_341:                             ;   in Loop: Header=BB10_263 Depth=2
	s_or_b64 exec, exec, s[56:57]
	v_and_b32_e32 v4, 15, v23
	v_cndmask_b32_e32 v10, v31, v4, vcc
	v_cmp_ne_u32_e64 s[28:29], 0, v10
	s_mov_b64 s[56:57], 0
	v_mov_b32_e32 v1, 0
                                        ; implicit-def: $vgpr15
                                        ; implicit-def: $vgpr3
	s_and_saveexec_b64 s[58:59], s[28:29]
	s_cbranch_execz .LBB10_343
; %bb.342:                              ;   in Loop: Header=BB10_263 Depth=2
	v_sub_u32_e32 v1, v31, v4
	v_cndmask_b32_e32 v1, 0, v1, vcc
	v_cmp_lt_i32_e32 vcc, 0, v19
	v_cndmask_b32_e32 v3, 0, v50, vcc
	v_sub_u32_e32 v3, v3, v19
	v_lshl_add_u32 v15, v3, 6, v17
	v_ashrrev_i32_e32 v3, 31, v15
	v_lshrrev_b32_e32 v3, 26, v3
	v_add_u32_e32 v3, v15, v3
	s_mov_b64 s[56:57], exec
	v_add3_u32 v1, v18, v16, v1
	v_ashrrev_i32_e32 v3, 6, v3
.LBB10_343:                             ;   in Loop: Header=BB10_263 Depth=2
	s_or_b64 exec, exec, s[58:59]
	s_and_b64 s[56:57], s[56:57], exec
.LBB10_344:                             ;   in Loop: Header=BB10_263 Depth=2
	s_or_b64 exec, exec, s[54:55]
	s_and_saveexec_b64 s[28:29], s[56:57]
	s_cbranch_execz .LBB10_354
.LBB10_345:                             ;   in Loop: Header=BB10_263 Depth=2
	v_ashrrev_i32_e32 v4, 31, v10
	v_lshrrev_b32_e32 v4, 22, v4
	v_add_u32_e32 v4, v10, v4
	v_ashrrev_i32_e32 v19, 10, v4
	v_sub_u32_e32 v18, v19, v3
	v_cmp_lt_i32_e32 vcc, 0, v18
	s_and_saveexec_b64 s[54:55], vcc
	s_cbranch_execz .LBB10_349
; %bb.346:                              ;   in Loop: Header=BB10_263 Depth=2
	v_ashrrev_i32_e32 v14, 31, v15
	s_trap 2
	ds_read_b64 v[4:5], v0
	v_lshrrev_b32_e32 v14, 26, v14
	v_add_u32_e32 v14, v15, v14
	v_and_b32_e32 v14, 0xffffffc0, v14
	v_sub_u32_e32 v14, v15, v14
	v_lshlrev_b32_e32 v3, 10, v3
	v_add3_u32 v14, v1, v14, v3
	v_ashrrev_i32_e32 v3, 31, v14
	s_mov_b64 s[56:57], 0
	s_waitcnt lgkmcnt(0)
	v_pk_mov_b32 v[16:17], v[4:5], v[4:5] op_sel:[0,1]
.LBB10_347:                             ;   Parent Loop BB10_81 Depth=1
                                        ;     Parent Loop BB10_263 Depth=2
                                        ; =>    This Inner Loop Header: Depth=3
	v_add_co_u32_e32 v44, vcc, v14, v16
	v_addc_co_u32_e32 v45, vcc, v3, v17, vcc
	flat_load_ubyte v31, v[44:45] glc slc
	flat_load_ubyte v48, v[44:45] offset:64 glc slc
	flat_load_ubyte v52, v[44:45] offset:128 glc slc
	;; [unrolled: 1-line block ×15, first 2 shown]
	v_add_co_u32_e32 v44, vcc, v14, v4
	v_addc_co_u32_e32 v45, vcc, v3, v5, vcc
	v_add_co_u32_e32 v16, vcc, v16, v11
	v_addc_co_u32_e32 v17, vcc, v17, v6, vcc
	v_add_co_u32_e32 v4, vcc, v4, v11
	v_sub_u32_e32 v18, v18, v50
	v_addc_co_u32_e32 v5, vcc, v5, v6, vcc
	v_cmp_gt_i32_e32 vcc, 1, v18
	s_or_b64 s[56:57], vcc, s[56:57]
	s_waitcnt vmcnt(0) lgkmcnt(0)
	flat_store_byte v[44:45], v31 glc slc
	flat_store_byte v[44:45], v48 offset:64 glc slc
	flat_store_byte v[44:45], v52 offset:128 glc slc
	;; [unrolled: 1-line block ×15, first 2 shown]
	s_andn2_b64 exec, exec, s[56:57]
	s_cbranch_execnz .LBB10_347
; %bb.348:                              ;   in Loop: Header=BB10_263 Depth=2
	s_or_b64 exec, exec, s[56:57]
	v_accvgpr_read_b32 v51, a24
	v_accvgpr_read_b32 v54, a26
	;; [unrolled: 1-line block ×5, first 2 shown]
.LBB10_349:                             ;   in Loop: Header=BB10_263 Depth=2
	s_or_b64 exec, exec, s[54:55]
	v_lshlrev_b32_e32 v3, 10, v19
	v_cmp_ne_u32_e32 vcc, v10, v3
	s_and_saveexec_b64 s[54:55], vcc
	s_cbranch_execz .LBB10_353
; %bb.350:                              ;   in Loop: Header=BB10_263 Depth=2
	v_ashrrev_i32_e32 v0, 31, v15
	v_lshrrev_b32_e32 v0, 26, v0
	v_add_u32_e32 v0, v15, v0
	v_and_b32_e32 v0, 0xffffffc0, v0
	v_sub_u32_e32 v0, v15, v0
	v_lshlrev_b32_e32 v4, 6, v18
	v_sub_u32_e32 v0, v0, v4
	v_add_u32_e32 v3, v3, v0
	v_sub_u32_e32 v10, v10, v3
	v_cmp_lt_i32_e32 vcc, 0, v10
	s_and_b64 exec, exec, vcc
	s_cbranch_execz .LBB10_353
; %bb.351:                              ;   in Loop: Header=BB10_263 Depth=2
	s_trap 2
	ds_read_b64 v[4:5], v0
	v_add_u32_e32 v14, v3, v1
	v_ashrrev_i32_e32 v3, 31, v14
	s_mov_b64 s[56:57], 0
.LBB10_352:                             ;   Parent Loop BB10_81 Depth=1
                                        ;     Parent Loop BB10_263 Depth=2
                                        ; =>    This Inner Loop Header: Depth=3
	s_waitcnt lgkmcnt(0)
	v_add_co_u32_e32 v16, vcc, v4, v14
	v_addc_co_u32_e32 v17, vcc, v5, v3, vcc
	flat_load_ubyte v0, v[16:17] glc slc
	v_add_co_u32_e32 v14, vcc, v14, v8
	v_sub_u32_e32 v10, v10, v25
	v_addc_co_u32_e32 v3, vcc, v3, v9, vcc
	v_cmp_gt_i32_e32 vcc, 1, v10
	s_or_b64 s[56:57], vcc, s[56:57]
	s_waitcnt vmcnt(0) lgkmcnt(0)
	flat_store_byte v[16:17], v0 glc slc
	s_andn2_b64 exec, exec, s[56:57]
	s_cbranch_execnz .LBB10_352
.LBB10_353:                             ;   in Loop: Header=BB10_263 Depth=2
	s_or_b64 exec, exec, s[54:55]
.LBB10_354:                             ;   in Loop: Header=BB10_263 Depth=2
	s_or_b64 exec, exec, s[28:29]
.LBB10_355:                             ;   in Loop: Header=BB10_263 Depth=2
	s_and_saveexec_b64 s[28:29], s[10:11]
	s_cbranch_execz .LBB10_374
; %bb.356:                              ;   in Loop: Header=BB10_263 Depth=2
	s_and_saveexec_b64 vcc, s[46:47]
	s_xor_b64 s[54:55], exec, vcc
	s_cbranch_execz .LBB10_371
; %bb.357:                              ;   in Loop: Header=BB10_263 Depth=2
	s_and_saveexec_b64 s[56:57], s[16:17]
	s_cbranch_execz .LBB10_370
; %bb.358:                              ;   in Loop: Header=BB10_263 Depth=2
	s_mov_b64 s[60:61], exec
	v_mbcnt_lo_u32_b32 v0, s60, 0
	v_mbcnt_hi_u32_b32 v0, s61, v0
	v_cmp_eq_u32_e32 vcc, 0, v0
	s_waitcnt vmcnt(0) lgkmcnt(0)
	buffer_wbinvl1_vol
	s_and_saveexec_b64 s[58:59], vcc
	s_cbranch_execz .LBB10_360
; %bb.359:                              ;   in Loop: Header=BB10_263 Depth=2
	s_bcnt1_i32_b64 vcc_lo, s[60:61]
	v_mov_b32_e32 v48, vcc_lo
	ds_add_u64 v0, v[48:49]
	s_trap 2
.LBB10_360:                             ;   in Loop: Header=BB10_263 Depth=2
	s_or_b64 exec, exec, s[58:59]
	s_trap 2
	ds_read_b64 v[4:5], v0
	v_add_co_u32_e32 v34, vcc, v34, v50
	v_addc_co_u32_e32 v35, vcc, 0, v35, vcc
	s_waitcnt lgkmcnt(0)
	v_cmp_lt_u64_e32 vcc, v[4:5], v[34:35]
	s_and_saveexec_b64 s[58:59], vcc
	s_cbranch_execz .LBB10_369
; %bb.361:                              ;   in Loop: Header=BB10_263 Depth=2
	s_mov_b32 s77, 0
	s_mov_b64 s[60:61], 0
                                        ; implicit-def: $sgpr62_sgpr63
                                        ; implicit-def: $sgpr64_sgpr65
	s_branch .LBB10_363
.LBB10_362:                             ;   in Loop: Header=BB10_363 Depth=3
	s_or_b64 exec, exec, s[68:69]
	s_and_b64 vcc, exec, vcc
	s_or_b64 s[60:61], vcc, s[60:61]
	s_andn2_b64 vcc, s[62:63], exec
	s_and_b64 s[62:63], s[64:65], exec
	s_or_b64 s[62:63], vcc, s[62:63]
	s_andn2_b64 exec, exec, s[60:61]
	s_cbranch_execz .LBB10_367
.LBB10_363:                             ;   Parent Loop BB10_81 Depth=1
                                        ;     Parent Loop BB10_263 Depth=2
                                        ; =>    This Inner Loop Header: Depth=3
	s_add_i32 s77, s77, 1
	s_cmpk_lg_i32 s77, 0x2710
	s_cselect_b64 s[66:67], -1, 0
	s_and_b64 vcc, exec, s[66:67]
                                        ; implicit-def: $sgpr68_sgpr69
	s_cbranch_vccnz .LBB10_365
; %bb.364:                              ;   in Loop: Header=BB10_363 Depth=3
	s_trap 2
	ds_read_b64 v[4:5], v0
	s_andn2_b64 s[66:67], s[66:67], exec
	s_mov_b32 s77, 0
	s_mov_b64 s[68:69], -1
	s_waitcnt lgkmcnt(0)
	flat_load_dword v0, v[4:5] glc
	s_waitcnt vmcnt(0) lgkmcnt(0)
	buffer_invl2
	buffer_wbinvl1_vol
	v_cmp_eq_u32_e32 vcc, 0, v0
	s_and_b64 vcc, vcc, exec
	s_or_b64 s[66:67], s[66:67], vcc
.LBB10_365:                             ;   in Loop: Header=BB10_363 Depth=3
	s_andn2_b64 s[64:65], s[64:65], exec
	s_and_b64 s[68:69], s[68:69], exec
	s_mov_b64 vcc, -1
	s_or_b64 s[64:65], s[64:65], s[68:69]
	s_and_saveexec_b64 s[68:69], s[66:67]
	s_cbranch_execz .LBB10_362
; %bb.366:                              ;   in Loop: Header=BB10_363 Depth=3
	s_sleep 1
	s_trap 2
	ds_read_b64 v[4:5], v0
	s_andn2_b64 s[64:65], s[64:65], exec
	s_waitcnt lgkmcnt(0)
	v_cmp_ge_u64_e32 vcc, v[4:5], v[34:35]
	s_orn2_b64 vcc, vcc, exec
	s_branch .LBB10_362
.LBB10_367:                             ;   in Loop: Header=BB10_263 Depth=2
	s_or_b64 exec, exec, s[60:61]
	s_and_saveexec_b64 vcc, s[62:63]
	s_xor_b64 vcc, exec, vcc
	s_cbranch_execz .LBB10_369
; %bb.368:                              ;   in Loop: Header=BB10_263 Depth=2
	ds_write_b32 v0, v42
	s_trap 2
.LBB10_369:                             ;   in Loop: Header=BB10_263 Depth=2
	s_or_b64 exec, exec, s[58:59]
	;;#ASMSTART
	s_wakeup
	;;#ASMEND
.LBB10_370:                             ;   in Loop: Header=BB10_263 Depth=2
	s_or_b64 exec, exec, s[56:57]
.LBB10_371:                             ;   in Loop: Header=BB10_263 Depth=2
	s_andn2_saveexec_b64 vcc, s[54:55]
	s_cbranch_execz .LBB10_373
; %bb.372:                              ;   in Loop: Header=BB10_263 Depth=2
	s_waitcnt vmcnt(0) lgkmcnt(0)
	buffer_wbinvl1_vol
	s_barrier
.LBB10_373:                             ;   in Loop: Header=BB10_263 Depth=2
	s_or_b64 exec, exec, vcc
.LBB10_374:                             ;   in Loop: Header=BB10_263 Depth=2
	s_or_b64 exec, exec, s[28:29]
	v_and_b32_e32 v1, 16, v62
	s_and_saveexec_b64 s[28:29], s[24:25]
	s_xor_b64 s[54:55], exec, s[28:29]
	s_cbranch_execz .LBB10_379
; %bb.375:                              ;   in Loop: Header=BB10_263 Depth=2
	v_and_b32_e32 v0, 16, v62
	v_cmp_lt_i32_e32 vcc, 0, v23
	v_cmp_ne_u32_e64 s[28:29], 0, v0
	v_and_b32_e32 v1, 16, v62
	s_and_b64 vcc, s[28:29], vcc
	s_and_saveexec_b64 s[28:29], vcc
	s_cbranch_execz .LBB10_377
; %bb.376:                              ;   in Loop: Header=BB10_263 Depth=2
	v_mov_b32_e32 v1, 1
	s_waitcnt vmcnt(0) lgkmcnt(0)
	buffer_wbinvl1_vol
.LBB10_377:                             ;   in Loop: Header=BB10_263 Depth=2
	s_or_b64 exec, exec, s[28:29]
	s_andn2_saveexec_b64 s[28:29], s[54:55]
	s_cbranch_execnz .LBB10_380
.LBB10_378:                             ;   in Loop: Header=BB10_263 Depth=2
	s_or_b64 exec, exec, s[28:29]
	v_cmp_ne_u32_e32 vcc, 0, v1
	s_and_saveexec_b64 s[28:29], vcc
	s_cbranch_execz .LBB10_262
	s_branch .LBB10_398
.LBB10_379:                             ;   in Loop: Header=BB10_263 Depth=2
	s_andn2_saveexec_b64 s[28:29], s[54:55]
	s_cbranch_execz .LBB10_378
.LBB10_380:                             ;   in Loop: Header=BB10_263 Depth=2
	s_and_saveexec_b64 vcc, s[46:47]
	s_xor_b64 s[54:55], exec, vcc
	s_cbranch_execz .LBB10_395
; %bb.381:                              ;   in Loop: Header=BB10_263 Depth=2
	s_and_saveexec_b64 s[56:57], s[16:17]
	s_cbranch_execz .LBB10_394
; %bb.382:                              ;   in Loop: Header=BB10_263 Depth=2
	s_mov_b64 s[60:61], exec
	v_mbcnt_lo_u32_b32 v0, s60, 0
	v_mbcnt_hi_u32_b32 v0, s61, v0
	v_cmp_eq_u32_e32 vcc, 0, v0
	;;#ASMSTART
	s_waitcnt lgkmcnt(0) vmcnt(0)
	;;#ASMEND
	s_and_saveexec_b64 s[58:59], vcc
	s_cbranch_execz .LBB10_384
; %bb.383:                              ;   in Loop: Header=BB10_263 Depth=2
	s_bcnt1_i32_b64 vcc_lo, s[60:61]
	v_mov_b32_e32 v48, vcc_lo
	ds_add_u64 v0, v[48:49]
	s_trap 2
.LBB10_384:                             ;   in Loop: Header=BB10_263 Depth=2
	s_or_b64 exec, exec, s[58:59]
	s_trap 2
	ds_read_b64 v[4:5], v0
	v_add_co_u32_e32 v34, vcc, v34, v50
	v_addc_co_u32_e32 v35, vcc, 0, v35, vcc
	s_waitcnt lgkmcnt(0)
	v_cmp_lt_u64_e32 vcc, v[4:5], v[34:35]
	s_and_saveexec_b64 s[58:59], vcc
	s_cbranch_execz .LBB10_393
; %bb.385:                              ;   in Loop: Header=BB10_263 Depth=2
	s_mov_b32 s77, 0
	s_mov_b64 s[60:61], 0
                                        ; implicit-def: $sgpr62_sgpr63
                                        ; implicit-def: $sgpr64_sgpr65
	s_branch .LBB10_387
.LBB10_386:                             ;   in Loop: Header=BB10_387 Depth=3
	s_or_b64 exec, exec, s[68:69]
	s_and_b64 vcc, exec, vcc
	s_or_b64 s[60:61], vcc, s[60:61]
	s_andn2_b64 vcc, s[62:63], exec
	s_and_b64 s[62:63], s[64:65], exec
	s_or_b64 s[62:63], vcc, s[62:63]
	s_andn2_b64 exec, exec, s[60:61]
	s_cbranch_execz .LBB10_391
.LBB10_387:                             ;   Parent Loop BB10_81 Depth=1
                                        ;     Parent Loop BB10_263 Depth=2
                                        ; =>    This Inner Loop Header: Depth=3
	s_add_i32 s77, s77, 1
	s_cmpk_lg_i32 s77, 0x2710
	s_cselect_b64 s[66:67], -1, 0
	s_and_b64 vcc, exec, s[66:67]
                                        ; implicit-def: $sgpr68_sgpr69
	s_cbranch_vccnz .LBB10_389
; %bb.388:                              ;   in Loop: Header=BB10_387 Depth=3
	s_trap 2
	ds_read_b64 v[4:5], v0
	s_andn2_b64 s[66:67], s[66:67], exec
	s_mov_b32 s77, 0
	s_mov_b64 s[68:69], -1
	s_waitcnt vmcnt(0) lgkmcnt(0)
	flat_load_dword v0, v[4:5] glc
	s_waitcnt vmcnt(0) lgkmcnt(0)
	buffer_invl2
	buffer_wbinvl1_vol
	v_cmp_eq_u32_e32 vcc, 0, v0
	s_and_b64 vcc, vcc, exec
	s_or_b64 s[66:67], s[66:67], vcc
.LBB10_389:                             ;   in Loop: Header=BB10_387 Depth=3
	s_andn2_b64 s[64:65], s[64:65], exec
	s_and_b64 s[68:69], s[68:69], exec
	s_mov_b64 vcc, -1
	s_or_b64 s[64:65], s[64:65], s[68:69]
	s_and_saveexec_b64 s[68:69], s[66:67]
	s_cbranch_execz .LBB10_386
; %bb.390:                              ;   in Loop: Header=BB10_387 Depth=3
	s_sleep 1
	s_trap 2
	ds_read_b64 v[4:5], v0
	s_andn2_b64 s[64:65], s[64:65], exec
	s_waitcnt lgkmcnt(0)
	v_cmp_ge_u64_e32 vcc, v[4:5], v[34:35]
	s_orn2_b64 vcc, vcc, exec
	s_branch .LBB10_386
.LBB10_391:                             ;   in Loop: Header=BB10_263 Depth=2
	s_or_b64 exec, exec, s[60:61]
	s_and_saveexec_b64 vcc, s[62:63]
	s_xor_b64 vcc, exec, vcc
	s_cbranch_execz .LBB10_393
; %bb.392:                              ;   in Loop: Header=BB10_263 Depth=2
	ds_write_b32 v0, v42
	s_trap 2
.LBB10_393:                             ;   in Loop: Header=BB10_263 Depth=2
	s_or_b64 exec, exec, s[58:59]
	;;#ASMSTART
	s_wakeup
	;;#ASMEND
.LBB10_394:                             ;   in Loop: Header=BB10_263 Depth=2
	s_or_b64 exec, exec, s[56:57]
.LBB10_395:                             ;   in Loop: Header=BB10_263 Depth=2
	s_andn2_saveexec_b64 vcc, s[54:55]
	s_cbranch_execz .LBB10_397
; %bb.396:                              ;   in Loop: Header=BB10_263 Depth=2
	;;#ASMSTART
	s_waitcnt lgkmcnt(0) vmcnt(0)
	;;#ASMEND
	s_barrier
.LBB10_397:                             ;   in Loop: Header=BB10_263 Depth=2
	s_or_b64 exec, exec, vcc
	s_or_b64 exec, exec, s[28:29]
	v_cmp_ne_u32_e32 vcc, 0, v1
	s_and_saveexec_b64 s[28:29], vcc
	s_cbranch_execz .LBB10_262
.LBB10_398:                             ;   in Loop: Header=BB10_263 Depth=2
	s_and_saveexec_b64 vcc, s[14:15]
	s_cbranch_execz .LBB10_261
; %bb.399:                              ;   in Loop: Header=BB10_263 Depth=2
	flat_store_dword v[36:37], v42
	s_branch .LBB10_261
.LBB10_400:                             ;   in Loop: Header=BB10_81 Depth=1
	s_or_b64 exec, exec, s[56:57]
.LBB10_401:                             ;   in Loop: Header=BB10_81 Depth=1
	s_or_b64 exec, exec, s[54:55]
	v_cmp_gt_i32_e32 vcc, 2, v1
	s_and_saveexec_b64 s[30:31], vcc
	s_cbranch_execz .LBB10_545
; %bb.402:                              ;   in Loop: Header=BB10_81 Depth=1
	v_cmp_eq_u32_e64 s[28:29], 0, v1
	s_mov_b64 s[34:35], 0
	s_branch .LBB10_405
.LBB10_403:                             ;   in Loop: Header=BB10_405 Depth=2
	s_or_b64 exec, exec, vcc
	v_add_co_u32_e32 v26, vcc, 2, v26
	v_addc_co_u32_e32 v27, vcc, 0, v27, vcc
	flat_store_dwordx2 v[28:29], v[26:27]
.LBB10_404:                             ;   in Loop: Header=BB10_405 Depth=2
	s_or_b64 exec, exec, s[28:29]
	v_add_u32_e32 v31, v58, v31
	s_mov_b64 s[28:29], 0
	s_andn2_b64 exec, exec, s[34:35]
	s_cbranch_execz .LBB10_544
.LBB10_405:                             ;   Parent Loop BB10_81 Depth=1
                                        ; =>  This Loop Header: Depth=2
                                        ;       Child Loop BB10_411 Depth 3
                                        ;       Child Loop BB10_435 Depth 3
	;; [unrolled: 1-line block ×3, first 2 shown]
	v_and_b32_e32 v0, 8, v62
	s_mov_b64 s[54:55], -1
	v_cmp_ne_u32_e32 vcc, 0, v0
	s_and_saveexec_b64 s[36:37], vcc
	s_cbranch_execz .LBB10_417
; %bb.406:                              ;   in Loop: Header=BB10_405 Depth=2
	v_add_co_u32_e32 v4, vcc, 8, v38
	v_addc_co_u32_e32 v5, vcc, 0, v39, vcc
	v_add_co_u32_e32 v2, vcc, 2, v26
	v_addc_co_u32_e32 v3, vcc, 0, v27, vcc
	v_cmp_lt_u64_e32 vcc, v[4:5], v[2:3]
	v_mov_b32_e32 v1, 1
	s_and_saveexec_b64 s[54:55], vcc
	s_cbranch_execz .LBB10_416
; %bb.407:                              ;   in Loop: Header=BB10_405 Depth=2
	s_mov_b64 s[56:57], 0
	v_mov_b32_e32 v1, 0
                                        ; implicit-def: $sgpr58_sgpr59
	s_branch .LBB10_411
.LBB10_408:                             ;   in Loop: Header=BB10_411 Depth=3
	s_or_b64 exec, exec, s[66:67]
	v_mov_b32_e32 v4, 0
	s_orn2_b64 s[64:65], s[64:65], exec
.LBB10_409:                             ;   in Loop: Header=BB10_411 Depth=3
	s_or_b64 exec, exec, s[62:63]
	s_andn2_b64 vcc, s[58:59], exec
	s_and_b64 s[58:59], s[64:65], exec
	s_or_b64 s[58:59], vcc, s[58:59]
	v_mov_b32_e32 v1, v4
.LBB10_410:                             ;   in Loop: Header=BB10_411 Depth=3
	s_or_b64 exec, exec, s[60:61]
	s_waitcnt vmcnt(0) lgkmcnt(0)
	v_add_co_u32_e32 v4, vcc, 8, v38
	v_addc_co_u32_e32 v5, vcc, 0, v39, vcc
	v_cmp_ge_u64_e32 vcc, v[4:5], v[2:3]
	s_xor_b64 s[60:61], s[58:59], -1
	s_or_b64 vcc, s[60:61], vcc
	s_and_b64 vcc, exec, vcc
	s_or_b64 s[56:57], vcc, s[56:57]
	s_andn2_b64 exec, exec, s[56:57]
	s_cbranch_execz .LBB10_415
.LBB10_411:                             ;   Parent Loop BB10_81 Depth=1
                                        ;     Parent Loop BB10_405 Depth=2
                                        ; =>    This Inner Loop Header: Depth=3
	s_sleep 1
	flat_load_dwordx2 v[38:39], v[28:29] glc
	v_and_b32_e32 v0, 64, v62
	v_cmp_eq_u32_e32 vcc, 0, v0
	s_andn2_b64 s[58:59], s[58:59], exec
	s_and_saveexec_b64 s[60:61], vcc
	s_cbranch_execz .LBB10_410
; %bb.412:                              ;   in Loop: Header=BB10_411 Depth=3
	v_add_u32_e32 v4, 1, v1
	v_cmp_lt_i32_e32 vcc, s72, v1
	s_mov_b64 s[64:65], -1
	s_and_saveexec_b64 s[62:63], vcc
	s_cbranch_execz .LBB10_409
; %bb.413:                              ;   in Loop: Header=BB10_411 Depth=3
	s_trap 2
	ds_read_b64 v[4:5], v0
	s_waitcnt vmcnt(0) lgkmcnt(0)
	flat_load_dword v1, v[4:5] glc
	s_waitcnt vmcnt(0) lgkmcnt(0)
	buffer_invl2
	buffer_wbinvl1_vol
	v_cmp_ne_u32_e32 vcc, 0, v1
	s_and_saveexec_b64 s[66:67], vcc
	s_cbranch_execz .LBB10_408
; %bb.414:                              ;   in Loop: Header=BB10_411 Depth=3
	v_or_b32_e32 v62, 64, v62
	s_xor_b64 s[64:65], exec, -1
	ds_write_b32 v0, v1
	s_trap 2
	s_branch .LBB10_408
.LBB10_415:                             ;   in Loop: Header=BB10_405 Depth=2
	s_or_b64 exec, exec, s[56:57]
	v_and_b32_e32 v1, 8, v62
.LBB10_416:                             ;   in Loop: Header=BB10_405 Depth=2
	s_or_b64 exec, exec, s[54:55]
	v_cmp_eq_u32_e32 vcc, 0, v1
	s_orn2_b64 s[54:55], vcc, exec
	;;#ASMSTART
	s_wakeup
	;;#ASMEND
.LBB10_417:                             ;   in Loop: Header=BB10_405 Depth=2
	s_or_b64 exec, exec, s[36:37]
	s_xor_b64 s[28:29], s[28:29], -1
	s_and_b64 s[28:29], exec, s[28:29]
	s_or_b64 s[34:35], s[28:29], s[34:35]
	v_sub_u32_e32 v0, v7, v31
	s_xor_b64 s[28:29], s[54:55], -1
	v_min_i32_e32 v58, v58, v0
	s_and_saveexec_b64 s[36:37], s[28:29]
	s_cbranch_execz .LBB10_427
; %bb.418:                              ;   in Loop: Header=BB10_405 Depth=2
	v_and_b32_e32 v0, 0x100, v62
	v_cmp_ne_u32_e32 vcc, 0, v0
	v_and_b32_e32 v1, 7, v26
	s_mov_b64 s[28:29], -1
                                        ; implicit-def: $vgpr2_vgpr3
	s_and_saveexec_b64 s[54:55], vcc
	s_cbranch_execz .LBB10_422
; %bb.419:                              ;   in Loop: Header=BB10_405 Depth=2
	v_mad_u64_u32 v[4:5], s[28:29], v1, 24, v[12:13]
	flat_load_dword v0, v[4:5]
	v_ashrrev_i32_e32 v59, 31, v58
	flat_store_dwordx2 v[4:5], v[58:59] offset:8
                                        ; implicit-def: $vgpr2_vgpr3
	s_waitcnt vmcnt(0) lgkmcnt(0)
	v_cmp_ne_u32_e32 vcc, 1, v0
	v_cmp_eq_u32_e64 s[28:29], 1, v0
	s_and_saveexec_b64 s[56:57], s[28:29]
	s_cbranch_execz .LBB10_421
; %bb.420:                              ;   in Loop: Header=BB10_405 Depth=2
	flat_load_dword v2, v[4:5] offset:4 glc
	s_waitcnt vmcnt(0) lgkmcnt(0)
	v_ashrrev_i32_e32 v3, 31, v2
.LBB10_421:                             ;   in Loop: Header=BB10_405 Depth=2
	s_or_b64 exec, exec, s[56:57]
	s_orn2_b64 s[28:29], vcc, exec
.LBB10_422:                             ;   in Loop: Header=BB10_405 Depth=2
	s_or_b64 exec, exec, s[54:55]
	s_and_saveexec_b64 vcc, s[28:29]
; %bb.423:                              ;   in Loop: Header=BB10_405 Depth=2
	v_mad_i64_i32 v[2:3], s[28:29], v1, v30, 0
; %bb.424:                              ;   in Loop: Header=BB10_405 Depth=2
	s_or_b64 exec, exec, vcc
	v_add_co_u32_e32 v2, vcc, v32, v2
	v_addc_co_u32_e32 v3, vcc, v33, v3, vcc
	ds_write_b64 v0, v[2:3] offset:792
	v_and_b32_e32 v0, 0x2000, v62
	v_cmp_ne_u32_e32 vcc, 0, v0
	s_and_saveexec_b64 s[28:29], vcc
	s_cbranch_execz .LBB10_426
; %bb.425:                              ;   in Loop: Header=BB10_405 Depth=2
	ds_read_b64 v[2:3], v0 offset:584
	s_waitcnt lgkmcnt(0)
	v_add_co_u32_e32 v2, vcc, 1, v2
	v_addc_co_u32_e32 v3, vcc, 0, v3, vcc
	ds_write_b64 v0, v[2:3] offset:584
.LBB10_426:                             ;   in Loop: Header=BB10_405 Depth=2
	s_or_b64 exec, exec, s[28:29]
	v_add_co_u32_e32 v26, vcc, 2, v26
	v_addc_co_u32_e32 v27, vcc, 0, v27, vcc
.LBB10_427:                             ;   in Loop: Header=BB10_405 Depth=2
	s_or_b64 exec, exec, s[36:37]
	s_and_saveexec_b64 s[28:29], s[10:11]
	s_cbranch_execz .LBB10_446
; %bb.428:                              ;   in Loop: Header=BB10_405 Depth=2
	s_and_saveexec_b64 vcc, s[46:47]
	s_xor_b64 s[36:37], exec, vcc
	s_cbranch_execz .LBB10_443
; %bb.429:                              ;   in Loop: Header=BB10_405 Depth=2
	s_and_saveexec_b64 s[54:55], s[16:17]
	s_cbranch_execz .LBB10_442
; %bb.430:                              ;   in Loop: Header=BB10_405 Depth=2
	s_mov_b64 s[58:59], exec
	v_mbcnt_lo_u32_b32 v0, s58, 0
	v_mbcnt_hi_u32_b32 v0, s59, v0
	v_cmp_eq_u32_e32 vcc, 0, v0
	s_waitcnt vmcnt(0) lgkmcnt(0)
	buffer_wbinvl1_vol
	s_and_saveexec_b64 s[56:57], vcc
	s_cbranch_execz .LBB10_432
; %bb.431:                              ;   in Loop: Header=BB10_405 Depth=2
	s_bcnt1_i32_b64 vcc_lo, s[58:59]
	v_mov_b32_e32 v48, vcc_lo
	ds_add_u64 v0, v[48:49]
	s_trap 2
.LBB10_432:                             ;   in Loop: Header=BB10_405 Depth=2
	s_or_b64 exec, exec, s[56:57]
	s_trap 2
	ds_read_b64 v[2:3], v0
	v_add_co_u32_e32 v34, vcc, v34, v50
	v_addc_co_u32_e32 v35, vcc, 0, v35, vcc
	s_waitcnt lgkmcnt(0)
	v_cmp_lt_u64_e32 vcc, v[2:3], v[34:35]
	s_and_saveexec_b64 s[56:57], vcc
	s_cbranch_execz .LBB10_441
; %bb.433:                              ;   in Loop: Header=BB10_405 Depth=2
	s_mov_b32 s68, 0
	s_mov_b64 s[58:59], 0
                                        ; implicit-def: $sgpr60_sgpr61
                                        ; implicit-def: $sgpr62_sgpr63
	s_branch .LBB10_435
.LBB10_434:                             ;   in Loop: Header=BB10_435 Depth=3
	s_or_b64 exec, exec, s[66:67]
	s_and_b64 vcc, exec, vcc
	s_or_b64 s[58:59], vcc, s[58:59]
	s_andn2_b64 vcc, s[60:61], exec
	s_and_b64 s[60:61], s[62:63], exec
	s_or_b64 s[60:61], vcc, s[60:61]
	s_andn2_b64 exec, exec, s[58:59]
	s_cbranch_execz .LBB10_439
.LBB10_435:                             ;   Parent Loop BB10_81 Depth=1
                                        ;     Parent Loop BB10_405 Depth=2
                                        ; =>    This Inner Loop Header: Depth=3
	s_add_i32 s68, s68, 1
	s_cmpk_lg_i32 s68, 0x2710
	s_cselect_b64 s[64:65], -1, 0
	s_and_b64 vcc, exec, s[64:65]
                                        ; implicit-def: $sgpr66_sgpr67
	s_cbranch_vccnz .LBB10_437
; %bb.436:                              ;   in Loop: Header=BB10_435 Depth=3
	s_trap 2
	ds_read_b64 v[2:3], v0
	s_andn2_b64 s[64:65], s[64:65], exec
	s_mov_b32 s68, 0
	s_mov_b64 s[66:67], -1
	s_waitcnt lgkmcnt(0)
	flat_load_dword v0, v[2:3] glc
	s_waitcnt vmcnt(0) lgkmcnt(0)
	buffer_invl2
	buffer_wbinvl1_vol
	v_cmp_eq_u32_e32 vcc, 0, v0
	s_and_b64 vcc, vcc, exec
	s_or_b64 s[64:65], s[64:65], vcc
.LBB10_437:                             ;   in Loop: Header=BB10_435 Depth=3
	s_andn2_b64 s[62:63], s[62:63], exec
	s_and_b64 s[66:67], s[66:67], exec
	s_mov_b64 vcc, -1
	s_or_b64 s[62:63], s[62:63], s[66:67]
	s_and_saveexec_b64 s[66:67], s[64:65]
	s_cbranch_execz .LBB10_434
; %bb.438:                              ;   in Loop: Header=BB10_435 Depth=3
	s_sleep 1
	s_trap 2
	ds_read_b64 v[2:3], v0
	s_andn2_b64 s[62:63], s[62:63], exec
	s_waitcnt lgkmcnt(0)
	v_cmp_ge_u64_e32 vcc, v[2:3], v[34:35]
	s_orn2_b64 vcc, vcc, exec
	s_branch .LBB10_434
.LBB10_439:                             ;   in Loop: Header=BB10_405 Depth=2
	s_or_b64 exec, exec, s[58:59]
	s_and_saveexec_b64 vcc, s[60:61]
	s_xor_b64 vcc, exec, vcc
	s_cbranch_execz .LBB10_441
; %bb.440:                              ;   in Loop: Header=BB10_405 Depth=2
	ds_write_b32 v0, v42
	s_trap 2
.LBB10_441:                             ;   in Loop: Header=BB10_405 Depth=2
	s_or_b64 exec, exec, s[56:57]
	;;#ASMSTART
	s_wakeup
	;;#ASMEND
.LBB10_442:                             ;   in Loop: Header=BB10_405 Depth=2
	s_or_b64 exec, exec, s[54:55]
.LBB10_443:                             ;   in Loop: Header=BB10_405 Depth=2
	s_andn2_saveexec_b64 vcc, s[36:37]
	s_cbranch_execz .LBB10_445
; %bb.444:                              ;   in Loop: Header=BB10_405 Depth=2
	s_waitcnt vmcnt(0) lgkmcnt(0)
	buffer_wbinvl1_vol
	s_barrier
.LBB10_445:                             ;   in Loop: Header=BB10_405 Depth=2
	s_or_b64 exec, exec, vcc
.LBB10_446:                             ;   in Loop: Header=BB10_405 Depth=2
	s_or_b64 exec, exec, s[28:29]
	v_and_b32_e32 v1, 16, v62
	s_and_saveexec_b64 s[28:29], s[24:25]
	s_xor_b64 s[28:29], exec, s[28:29]
	s_cbranch_execz .LBB10_451
; %bb.447:                              ;   in Loop: Header=BB10_405 Depth=2
	s_trap 2
	ds_read_b32 v0, v0
	v_cmp_lt_i32_e32 vcc, 0, v58
	v_and_b32_e32 v2, 16, v62
	v_and_b32_e32 v1, 16, v62
	s_waitcnt lgkmcnt(0)
	v_readfirstlane_b32 s36, v0
	s_cmp_eq_u32 s36, 0
	s_cselect_b64 s[36:37], -1, 0
	s_and_b64 s[36:37], vcc, s[36:37]
	v_cmp_ne_u32_e32 vcc, 0, v2
	s_and_b64 s[36:37], vcc, s[36:37]
	s_and_saveexec_b64 vcc, s[36:37]
	s_cbranch_execz .LBB10_449
; %bb.448:                              ;   in Loop: Header=BB10_405 Depth=2
	v_mov_b32_e32 v1, 1
	s_waitcnt vmcnt(0)
	buffer_wbinvl1_vol
.LBB10_449:                             ;   in Loop: Header=BB10_405 Depth=2
	s_or_b64 exec, exec, vcc
	s_andn2_saveexec_b64 s[28:29], s[28:29]
	s_cbranch_execnz .LBB10_452
.LBB10_450:                             ;   in Loop: Header=BB10_405 Depth=2
	s_or_b64 exec, exec, s[28:29]
	v_cmp_ne_u32_e32 vcc, 0, v1
	s_and_saveexec_b64 s[28:29], vcc
	s_cbranch_execz .LBB10_404
	s_branch .LBB10_470
.LBB10_451:                             ;   in Loop: Header=BB10_405 Depth=2
	s_andn2_saveexec_b64 s[28:29], s[28:29]
	s_cbranch_execz .LBB10_450
.LBB10_452:                             ;   in Loop: Header=BB10_405 Depth=2
	s_and_saveexec_b64 vcc, s[46:47]
	s_xor_b64 s[36:37], exec, vcc
	s_cbranch_execz .LBB10_467
; %bb.453:                              ;   in Loop: Header=BB10_405 Depth=2
	s_and_saveexec_b64 s[54:55], s[16:17]
	s_cbranch_execz .LBB10_466
; %bb.454:                              ;   in Loop: Header=BB10_405 Depth=2
	s_mov_b64 s[58:59], exec
	v_mbcnt_lo_u32_b32 v0, s58, 0
	v_mbcnt_hi_u32_b32 v0, s59, v0
	v_cmp_eq_u32_e32 vcc, 0, v0
	;;#ASMSTART
	s_waitcnt lgkmcnt(0) vmcnt(0)
	;;#ASMEND
	s_and_saveexec_b64 s[56:57], vcc
	s_cbranch_execz .LBB10_456
; %bb.455:                              ;   in Loop: Header=BB10_405 Depth=2
	s_bcnt1_i32_b64 vcc_lo, s[58:59]
	v_mov_b32_e32 v48, vcc_lo
	ds_add_u64 v0, v[48:49]
	s_trap 2
.LBB10_456:                             ;   in Loop: Header=BB10_405 Depth=2
	s_or_b64 exec, exec, s[56:57]
	s_trap 2
	ds_read_b64 v[2:3], v0
	v_add_co_u32_e32 v34, vcc, v34, v50
	v_addc_co_u32_e32 v35, vcc, 0, v35, vcc
	s_waitcnt lgkmcnt(0)
	v_cmp_lt_u64_e32 vcc, v[2:3], v[34:35]
	s_and_saveexec_b64 s[56:57], vcc
	s_cbranch_execz .LBB10_465
; %bb.457:                              ;   in Loop: Header=BB10_405 Depth=2
	s_mov_b32 s68, 0
	s_mov_b64 s[58:59], 0
                                        ; implicit-def: $sgpr60_sgpr61
                                        ; implicit-def: $sgpr62_sgpr63
	s_branch .LBB10_459
.LBB10_458:                             ;   in Loop: Header=BB10_459 Depth=3
	s_or_b64 exec, exec, s[66:67]
	s_and_b64 vcc, exec, vcc
	s_or_b64 s[58:59], vcc, s[58:59]
	s_andn2_b64 vcc, s[60:61], exec
	s_and_b64 s[60:61], s[62:63], exec
	s_or_b64 s[60:61], vcc, s[60:61]
	s_andn2_b64 exec, exec, s[58:59]
	s_cbranch_execz .LBB10_463
.LBB10_459:                             ;   Parent Loop BB10_81 Depth=1
                                        ;     Parent Loop BB10_405 Depth=2
                                        ; =>    This Inner Loop Header: Depth=3
	s_add_i32 s68, s68, 1
	s_cmpk_lg_i32 s68, 0x2710
	s_cselect_b64 s[64:65], -1, 0
	s_and_b64 vcc, exec, s[64:65]
                                        ; implicit-def: $sgpr66_sgpr67
	s_cbranch_vccnz .LBB10_461
; %bb.460:                              ;   in Loop: Header=BB10_459 Depth=3
	s_trap 2
	ds_read_b64 v[2:3], v0
	s_andn2_b64 s[64:65], s[64:65], exec
	s_mov_b32 s68, 0
	s_mov_b64 s[66:67], -1
	s_waitcnt vmcnt(0) lgkmcnt(0)
	flat_load_dword v0, v[2:3] glc
	s_waitcnt vmcnt(0) lgkmcnt(0)
	buffer_invl2
	buffer_wbinvl1_vol
	v_cmp_eq_u32_e32 vcc, 0, v0
	s_and_b64 vcc, vcc, exec
	s_or_b64 s[64:65], s[64:65], vcc
.LBB10_461:                             ;   in Loop: Header=BB10_459 Depth=3
	s_andn2_b64 s[62:63], s[62:63], exec
	s_and_b64 s[66:67], s[66:67], exec
	s_mov_b64 vcc, -1
	s_or_b64 s[62:63], s[62:63], s[66:67]
	s_and_saveexec_b64 s[66:67], s[64:65]
	s_cbranch_execz .LBB10_458
; %bb.462:                              ;   in Loop: Header=BB10_459 Depth=3
	s_sleep 1
	s_trap 2
	ds_read_b64 v[2:3], v0
	s_andn2_b64 s[62:63], s[62:63], exec
	s_waitcnt lgkmcnt(0)
	v_cmp_ge_u64_e32 vcc, v[2:3], v[34:35]
	s_orn2_b64 vcc, vcc, exec
	s_branch .LBB10_458
.LBB10_463:                             ;   in Loop: Header=BB10_405 Depth=2
	s_or_b64 exec, exec, s[58:59]
	s_and_saveexec_b64 vcc, s[60:61]
	s_xor_b64 vcc, exec, vcc
	s_cbranch_execz .LBB10_465
; %bb.464:                              ;   in Loop: Header=BB10_405 Depth=2
	ds_write_b32 v0, v42
	s_trap 2
.LBB10_465:                             ;   in Loop: Header=BB10_405 Depth=2
	s_or_b64 exec, exec, s[56:57]
	;;#ASMSTART
	s_wakeup
	;;#ASMEND
.LBB10_466:                             ;   in Loop: Header=BB10_405 Depth=2
	s_or_b64 exec, exec, s[54:55]
.LBB10_467:                             ;   in Loop: Header=BB10_405 Depth=2
	s_andn2_saveexec_b64 vcc, s[36:37]
	s_cbranch_execz .LBB10_469
; %bb.468:                              ;   in Loop: Header=BB10_405 Depth=2
	;;#ASMSTART
	s_waitcnt lgkmcnt(0) vmcnt(0)
	;;#ASMEND
	s_barrier
.LBB10_469:                             ;   in Loop: Header=BB10_405 Depth=2
	s_or_b64 exec, exec, vcc
	s_or_b64 exec, exec, s[28:29]
	v_cmp_ne_u32_e32 vcc, 0, v1
	s_and_saveexec_b64 s[28:29], vcc
	s_cbranch_execz .LBB10_404
.LBB10_470:                             ;   in Loop: Header=BB10_405 Depth=2
	s_and_saveexec_b64 vcc, s[14:15]
	s_cbranch_execz .LBB10_403
; %bb.471:                              ;   in Loop: Header=BB10_405 Depth=2
	flat_store_dword v[36:37], v42
	s_branch .LBB10_403
.LBB10_472:                             ;   in Loop: Header=BB10_81 Depth=1
	s_or_b64 exec, exec, s[36:37]
.LBB10_473:                             ;   in Loop: Header=BB10_81 Depth=1
	s_or_b64 exec, exec, s[34:35]
	v_cmp_gt_i32_e32 vcc, 2, v1
	s_and_saveexec_b64 s[34:35], vcc
	s_cbranch_execz .LBB10_548
; %bb.474:                              ;   in Loop: Header=BB10_81 Depth=1
	v_cmp_eq_u32_e64 s[28:29], 0, v1
	s_mov_b64 s[36:37], 0
	s_branch .LBB10_477
.LBB10_475:                             ;   in Loop: Header=BB10_477 Depth=2
	s_or_b64 exec, exec, vcc
	v_add_co_u32_e32 v26, vcc, 2, v26
	v_addc_co_u32_e32 v27, vcc, 0, v27, vcc
	flat_store_dwordx2 v[28:29], v[26:27]
.LBB10_476:                             ;   in Loop: Header=BB10_477 Depth=2
	s_or_b64 exec, exec, s[28:29]
	v_add_u32_e32 v22, v2, v22
	s_mov_b64 s[28:29], 0
	s_andn2_b64 exec, exec, s[36:37]
	s_cbranch_execz .LBB10_547
.LBB10_477:                             ;   Parent Loop BB10_81 Depth=1
                                        ; =>  This Loop Header: Depth=2
                                        ;       Child Loop BB10_483 Depth 3
                                        ;       Child Loop BB10_507 Depth 3
	;; [unrolled: 1-line block ×3, first 2 shown]
	v_and_b32_e32 v0, 8, v62
	s_mov_b64 s[54:55], -1
	v_cmp_ne_u32_e32 vcc, 0, v0
	s_and_saveexec_b64 s[52:53], vcc
	s_cbranch_execz .LBB10_489
; %bb.478:                              ;   in Loop: Header=BB10_477 Depth=2
	v_add_co_u32_e32 v14, vcc, 8, v38
	v_addc_co_u32_e32 v15, vcc, 0, v39, vcc
	v_add_co_u32_e32 v4, vcc, 2, v26
	v_addc_co_u32_e32 v5, vcc, 0, v27, vcc
	v_cmp_lt_u64_e32 vcc, v[14:15], v[4:5]
	v_mov_b32_e32 v1, 1
	s_and_saveexec_b64 s[54:55], vcc
	s_cbranch_execz .LBB10_488
; %bb.479:                              ;   in Loop: Header=BB10_477 Depth=2
	s_mov_b64 s[56:57], 0
	v_mov_b32_e32 v1, 0
                                        ; implicit-def: $sgpr58_sgpr59
	s_branch .LBB10_483
.LBB10_480:                             ;   in Loop: Header=BB10_483 Depth=3
	s_or_b64 exec, exec, s[66:67]
	v_mov_b32_e32 v3, 0
	s_orn2_b64 s[64:65], s[64:65], exec
.LBB10_481:                             ;   in Loop: Header=BB10_483 Depth=3
	s_or_b64 exec, exec, s[62:63]
	s_andn2_b64 vcc, s[58:59], exec
	s_and_b64 s[58:59], s[64:65], exec
	s_or_b64 s[58:59], vcc, s[58:59]
	v_mov_b32_e32 v1, v3
.LBB10_482:                             ;   in Loop: Header=BB10_483 Depth=3
	s_or_b64 exec, exec, s[60:61]
	s_waitcnt vmcnt(0) lgkmcnt(0)
	v_add_co_u32_e32 v14, vcc, 8, v38
	v_addc_co_u32_e32 v15, vcc, 0, v39, vcc
	v_cmp_ge_u64_e32 vcc, v[14:15], v[4:5]
	s_xor_b64 s[60:61], s[58:59], -1
	s_or_b64 vcc, s[60:61], vcc
	s_and_b64 vcc, exec, vcc
	s_or_b64 s[56:57], vcc, s[56:57]
	s_andn2_b64 exec, exec, s[56:57]
	s_cbranch_execz .LBB10_487
.LBB10_483:                             ;   Parent Loop BB10_81 Depth=1
                                        ;     Parent Loop BB10_477 Depth=2
                                        ; =>    This Inner Loop Header: Depth=3
	s_sleep 1
	flat_load_dwordx2 v[38:39], v[28:29] glc
	v_and_b32_e32 v0, 64, v62
	v_cmp_eq_u32_e32 vcc, 0, v0
	s_andn2_b64 s[58:59], s[58:59], exec
	s_and_saveexec_b64 s[60:61], vcc
	s_cbranch_execz .LBB10_482
; %bb.484:                              ;   in Loop: Header=BB10_483 Depth=3
	v_add_u32_e32 v3, 1, v1
	v_cmp_lt_i32_e32 vcc, s72, v1
	s_mov_b64 s[64:65], -1
	s_and_saveexec_b64 s[62:63], vcc
	s_cbranch_execz .LBB10_481
; %bb.485:                              ;   in Loop: Header=BB10_483 Depth=3
	s_trap 2
	ds_read_b64 v[14:15], v0
	s_waitcnt vmcnt(0) lgkmcnt(0)
	flat_load_dword v1, v[14:15] glc
	s_waitcnt vmcnt(0) lgkmcnt(0)
	buffer_invl2
	buffer_wbinvl1_vol
	v_cmp_ne_u32_e32 vcc, 0, v1
	s_and_saveexec_b64 s[66:67], vcc
	s_cbranch_execz .LBB10_480
; %bb.486:                              ;   in Loop: Header=BB10_483 Depth=3
	v_or_b32_e32 v62, 64, v62
	s_xor_b64 s[64:65], exec, -1
	ds_write_b32 v0, v1
	s_trap 2
	s_branch .LBB10_480
.LBB10_487:                             ;   in Loop: Header=BB10_477 Depth=2
	s_or_b64 exec, exec, s[56:57]
	v_and_b32_e32 v1, 8, v62
.LBB10_488:                             ;   in Loop: Header=BB10_477 Depth=2
	s_or_b64 exec, exec, s[54:55]
	v_cmp_eq_u32_e32 vcc, 0, v1
	s_orn2_b64 s[54:55], vcc, exec
	;;#ASMSTART
	s_wakeup
	;;#ASMEND
.LBB10_489:                             ;   in Loop: Header=BB10_477 Depth=2
	s_or_b64 exec, exec, s[52:53]
	s_xor_b64 s[28:29], s[28:29], -1
	s_and_b64 s[28:29], exec, s[28:29]
	s_or_b64 s[36:37], s[28:29], s[36:37]
	v_sub_u32_e32 v0, v7, v22
	s_xor_b64 s[28:29], s[54:55], -1
	v_min_i32_e32 v2, v2, v0
	s_and_saveexec_b64 s[52:53], s[28:29]
	s_cbranch_execz .LBB10_499
; %bb.490:                              ;   in Loop: Header=BB10_477 Depth=2
	v_and_b32_e32 v0, 0x100, v62
	v_cmp_ne_u32_e32 vcc, 0, v0
	v_and_b32_e32 v1, 7, v26
	s_mov_b64 s[28:29], -1
                                        ; implicit-def: $vgpr4_vgpr5
	s_and_saveexec_b64 s[54:55], vcc
	s_cbranch_execz .LBB10_494
; %bb.491:                              ;   in Loop: Header=BB10_477 Depth=2
	v_mad_u64_u32 v[14:15], s[28:29], v1, 24, v[12:13]
	flat_load_dword v0, v[14:15]
	v_ashrrev_i32_e32 v3, 31, v2
	flat_store_dwordx2 v[14:15], v[2:3] offset:8
                                        ; implicit-def: $vgpr4_vgpr5
	s_waitcnt vmcnt(0) lgkmcnt(0)
	v_cmp_ne_u32_e32 vcc, 1, v0
	v_cmp_eq_u32_e64 s[28:29], 1, v0
	s_and_saveexec_b64 s[56:57], s[28:29]
	s_cbranch_execz .LBB10_493
; %bb.492:                              ;   in Loop: Header=BB10_477 Depth=2
	flat_load_dword v4, v[14:15] offset:4 glc
	s_waitcnt vmcnt(0) lgkmcnt(0)
	v_ashrrev_i32_e32 v5, 31, v4
.LBB10_493:                             ;   in Loop: Header=BB10_477 Depth=2
	s_or_b64 exec, exec, s[56:57]
	s_orn2_b64 s[28:29], vcc, exec
.LBB10_494:                             ;   in Loop: Header=BB10_477 Depth=2
	s_or_b64 exec, exec, s[54:55]
	s_and_saveexec_b64 vcc, s[28:29]
; %bb.495:                              ;   in Loop: Header=BB10_477 Depth=2
	v_mad_i64_i32 v[4:5], s[28:29], v1, v30, 0
; %bb.496:                              ;   in Loop: Header=BB10_477 Depth=2
	s_or_b64 exec, exec, vcc
	v_add_co_u32_e32 v4, vcc, v32, v4
	v_addc_co_u32_e32 v5, vcc, v33, v5, vcc
	ds_write_b64 v0, v[4:5] offset:784
	v_and_b32_e32 v0, 0x2000, v62
	v_cmp_ne_u32_e32 vcc, 0, v0
	s_and_saveexec_b64 s[28:29], vcc
	s_cbranch_execz .LBB10_498
; %bb.497:                              ;   in Loop: Header=BB10_477 Depth=2
	ds_read_b64 v[4:5], v0 offset:584
	s_waitcnt lgkmcnt(0)
	v_add_co_u32_e32 v4, vcc, 1, v4
	v_addc_co_u32_e32 v5, vcc, 0, v5, vcc
	ds_write_b64 v0, v[4:5] offset:584
.LBB10_498:                             ;   in Loop: Header=BB10_477 Depth=2
	s_or_b64 exec, exec, s[28:29]
	v_add_co_u32_e32 v26, vcc, 2, v26
	v_addc_co_u32_e32 v27, vcc, 0, v27, vcc
.LBB10_499:                             ;   in Loop: Header=BB10_477 Depth=2
	s_or_b64 exec, exec, s[52:53]
	s_and_saveexec_b64 s[28:29], s[10:11]
	s_cbranch_execz .LBB10_518
; %bb.500:                              ;   in Loop: Header=BB10_477 Depth=2
	s_and_saveexec_b64 vcc, s[46:47]
	s_xor_b64 s[52:53], exec, vcc
	s_cbranch_execz .LBB10_515
; %bb.501:                              ;   in Loop: Header=BB10_477 Depth=2
	s_and_saveexec_b64 s[54:55], s[16:17]
	s_cbranch_execz .LBB10_514
; %bb.502:                              ;   in Loop: Header=BB10_477 Depth=2
	s_mov_b64 s[58:59], exec
	v_mbcnt_lo_u32_b32 v0, s58, 0
	v_mbcnt_hi_u32_b32 v0, s59, v0
	v_cmp_eq_u32_e32 vcc, 0, v0
	s_waitcnt vmcnt(0) lgkmcnt(0)
	buffer_wbinvl1_vol
	s_and_saveexec_b64 s[56:57], vcc
	s_cbranch_execz .LBB10_504
; %bb.503:                              ;   in Loop: Header=BB10_477 Depth=2
	s_bcnt1_i32_b64 vcc_lo, s[58:59]
	v_mov_b32_e32 v48, vcc_lo
	ds_add_u64 v0, v[48:49]
	s_trap 2
.LBB10_504:                             ;   in Loop: Header=BB10_477 Depth=2
	s_or_b64 exec, exec, s[56:57]
	s_trap 2
	ds_read_b64 v[4:5], v0
	v_add_co_u32_e32 v34, vcc, v34, v50
	v_addc_co_u32_e32 v35, vcc, 0, v35, vcc
	s_waitcnt lgkmcnt(0)
	v_cmp_lt_u64_e32 vcc, v[4:5], v[34:35]
	s_and_saveexec_b64 s[56:57], vcc
	s_cbranch_execz .LBB10_513
; %bb.505:                              ;   in Loop: Header=BB10_477 Depth=2
	s_mov_b32 s68, 0
	s_mov_b64 s[58:59], 0
                                        ; implicit-def: $sgpr60_sgpr61
                                        ; implicit-def: $sgpr62_sgpr63
	s_branch .LBB10_507
.LBB10_506:                             ;   in Loop: Header=BB10_507 Depth=3
	s_or_b64 exec, exec, s[66:67]
	s_and_b64 vcc, exec, vcc
	s_or_b64 s[58:59], vcc, s[58:59]
	s_andn2_b64 vcc, s[60:61], exec
	s_and_b64 s[60:61], s[62:63], exec
	s_or_b64 s[60:61], vcc, s[60:61]
	s_andn2_b64 exec, exec, s[58:59]
	s_cbranch_execz .LBB10_511
.LBB10_507:                             ;   Parent Loop BB10_81 Depth=1
                                        ;     Parent Loop BB10_477 Depth=2
                                        ; =>    This Inner Loop Header: Depth=3
	s_add_i32 s68, s68, 1
	s_cmpk_lg_i32 s68, 0x2710
	s_cselect_b64 s[64:65], -1, 0
	s_and_b64 vcc, exec, s[64:65]
                                        ; implicit-def: $sgpr66_sgpr67
	s_cbranch_vccnz .LBB10_509
; %bb.508:                              ;   in Loop: Header=BB10_507 Depth=3
	s_trap 2
	ds_read_b64 v[4:5], v0
	s_andn2_b64 s[64:65], s[64:65], exec
	s_mov_b32 s68, 0
	s_mov_b64 s[66:67], -1
	s_waitcnt lgkmcnt(0)
	flat_load_dword v0, v[4:5] glc
	s_waitcnt vmcnt(0) lgkmcnt(0)
	buffer_invl2
	buffer_wbinvl1_vol
	v_cmp_eq_u32_e32 vcc, 0, v0
	s_and_b64 vcc, vcc, exec
	s_or_b64 s[64:65], s[64:65], vcc
.LBB10_509:                             ;   in Loop: Header=BB10_507 Depth=3
	s_andn2_b64 s[62:63], s[62:63], exec
	s_and_b64 s[66:67], s[66:67], exec
	s_mov_b64 vcc, -1
	s_or_b64 s[62:63], s[62:63], s[66:67]
	s_and_saveexec_b64 s[66:67], s[64:65]
	s_cbranch_execz .LBB10_506
; %bb.510:                              ;   in Loop: Header=BB10_507 Depth=3
	s_sleep 1
	s_trap 2
	ds_read_b64 v[4:5], v0
	s_andn2_b64 s[62:63], s[62:63], exec
	s_waitcnt lgkmcnt(0)
	v_cmp_ge_u64_e32 vcc, v[4:5], v[34:35]
	s_orn2_b64 vcc, vcc, exec
	s_branch .LBB10_506
.LBB10_511:                             ;   in Loop: Header=BB10_477 Depth=2
	s_or_b64 exec, exec, s[58:59]
	s_and_saveexec_b64 vcc, s[60:61]
	s_xor_b64 vcc, exec, vcc
	s_cbranch_execz .LBB10_513
; %bb.512:                              ;   in Loop: Header=BB10_477 Depth=2
	ds_write_b32 v0, v42
	s_trap 2
.LBB10_513:                             ;   in Loop: Header=BB10_477 Depth=2
	s_or_b64 exec, exec, s[56:57]
	;;#ASMSTART
	s_wakeup
	;;#ASMEND
.LBB10_514:                             ;   in Loop: Header=BB10_477 Depth=2
	s_or_b64 exec, exec, s[54:55]
.LBB10_515:                             ;   in Loop: Header=BB10_477 Depth=2
	s_andn2_saveexec_b64 vcc, s[52:53]
	s_cbranch_execz .LBB10_517
; %bb.516:                              ;   in Loop: Header=BB10_477 Depth=2
	s_waitcnt vmcnt(0) lgkmcnt(0)
	buffer_wbinvl1_vol
	s_barrier
.LBB10_517:                             ;   in Loop: Header=BB10_477 Depth=2
	s_or_b64 exec, exec, vcc
.LBB10_518:                             ;   in Loop: Header=BB10_477 Depth=2
	s_or_b64 exec, exec, s[28:29]
	v_and_b32_e32 v1, 16, v62
	s_and_saveexec_b64 s[28:29], s[24:25]
	s_xor_b64 s[28:29], exec, s[28:29]
	s_cbranch_execz .LBB10_523
; %bb.519:                              ;   in Loop: Header=BB10_477 Depth=2
	s_trap 2
	ds_read_b32 v0, v0
	v_cmp_lt_i32_e32 vcc, 0, v2
	v_and_b32_e32 v3, 16, v62
	v_and_b32_e32 v1, 16, v62
	s_waitcnt lgkmcnt(0)
	v_readfirstlane_b32 s52, v0
	s_cmp_eq_u32 s52, 0
	s_cselect_b64 s[52:53], -1, 0
	s_and_b64 s[52:53], vcc, s[52:53]
	v_cmp_ne_u32_e32 vcc, 0, v3
	s_and_b64 s[52:53], vcc, s[52:53]
	s_and_saveexec_b64 vcc, s[52:53]
	s_cbranch_execz .LBB10_521
; %bb.520:                              ;   in Loop: Header=BB10_477 Depth=2
	v_mov_b32_e32 v1, 1
	s_waitcnt vmcnt(0)
	buffer_wbinvl1_vol
.LBB10_521:                             ;   in Loop: Header=BB10_477 Depth=2
	s_or_b64 exec, exec, vcc
	s_andn2_saveexec_b64 s[28:29], s[28:29]
	s_cbranch_execnz .LBB10_524
.LBB10_522:                             ;   in Loop: Header=BB10_477 Depth=2
	s_or_b64 exec, exec, s[28:29]
	v_cmp_ne_u32_e32 vcc, 0, v1
	s_and_saveexec_b64 s[28:29], vcc
	s_cbranch_execz .LBB10_476
	s_branch .LBB10_542
.LBB10_523:                             ;   in Loop: Header=BB10_477 Depth=2
	s_andn2_saveexec_b64 s[28:29], s[28:29]
	s_cbranch_execz .LBB10_522
.LBB10_524:                             ;   in Loop: Header=BB10_477 Depth=2
	s_and_saveexec_b64 vcc, s[46:47]
	s_xor_b64 s[52:53], exec, vcc
	s_cbranch_execz .LBB10_539
; %bb.525:                              ;   in Loop: Header=BB10_477 Depth=2
	s_and_saveexec_b64 s[54:55], s[16:17]
	s_cbranch_execz .LBB10_538
; %bb.526:                              ;   in Loop: Header=BB10_477 Depth=2
	s_mov_b64 s[58:59], exec
	v_mbcnt_lo_u32_b32 v0, s58, 0
	v_mbcnt_hi_u32_b32 v0, s59, v0
	v_cmp_eq_u32_e32 vcc, 0, v0
	;;#ASMSTART
	s_waitcnt lgkmcnt(0) vmcnt(0)
	;;#ASMEND
	s_and_saveexec_b64 s[56:57], vcc
	s_cbranch_execz .LBB10_528
; %bb.527:                              ;   in Loop: Header=BB10_477 Depth=2
	s_bcnt1_i32_b64 vcc_lo, s[58:59]
	v_mov_b32_e32 v48, vcc_lo
	ds_add_u64 v0, v[48:49]
	s_trap 2
.LBB10_528:                             ;   in Loop: Header=BB10_477 Depth=2
	s_or_b64 exec, exec, s[56:57]
	s_trap 2
	ds_read_b64 v[4:5], v0
	v_add_co_u32_e32 v34, vcc, v34, v50
	v_addc_co_u32_e32 v35, vcc, 0, v35, vcc
	s_waitcnt lgkmcnt(0)
	v_cmp_lt_u64_e32 vcc, v[4:5], v[34:35]
	s_and_saveexec_b64 s[56:57], vcc
	s_cbranch_execz .LBB10_537
; %bb.529:                              ;   in Loop: Header=BB10_477 Depth=2
	s_mov_b32 s68, 0
	s_mov_b64 s[58:59], 0
                                        ; implicit-def: $sgpr60_sgpr61
                                        ; implicit-def: $sgpr62_sgpr63
	s_branch .LBB10_531
.LBB10_530:                             ;   in Loop: Header=BB10_531 Depth=3
	s_or_b64 exec, exec, s[66:67]
	s_and_b64 vcc, exec, vcc
	s_or_b64 s[58:59], vcc, s[58:59]
	s_andn2_b64 vcc, s[60:61], exec
	s_and_b64 s[60:61], s[62:63], exec
	s_or_b64 s[60:61], vcc, s[60:61]
	s_andn2_b64 exec, exec, s[58:59]
	s_cbranch_execz .LBB10_535
.LBB10_531:                             ;   Parent Loop BB10_81 Depth=1
                                        ;     Parent Loop BB10_477 Depth=2
                                        ; =>    This Inner Loop Header: Depth=3
	s_add_i32 s68, s68, 1
	s_cmpk_lg_i32 s68, 0x2710
	s_cselect_b64 s[64:65], -1, 0
	s_and_b64 vcc, exec, s[64:65]
                                        ; implicit-def: $sgpr66_sgpr67
	s_cbranch_vccnz .LBB10_533
; %bb.532:                              ;   in Loop: Header=BB10_531 Depth=3
	s_trap 2
	ds_read_b64 v[4:5], v0
	s_andn2_b64 s[64:65], s[64:65], exec
	s_mov_b32 s68, 0
	s_mov_b64 s[66:67], -1
	s_waitcnt vmcnt(0) lgkmcnt(0)
	flat_load_dword v0, v[4:5] glc
	s_waitcnt vmcnt(0) lgkmcnt(0)
	buffer_invl2
	buffer_wbinvl1_vol
	v_cmp_eq_u32_e32 vcc, 0, v0
	s_and_b64 vcc, vcc, exec
	s_or_b64 s[64:65], s[64:65], vcc
.LBB10_533:                             ;   in Loop: Header=BB10_531 Depth=3
	s_andn2_b64 s[62:63], s[62:63], exec
	s_and_b64 s[66:67], s[66:67], exec
	s_mov_b64 vcc, -1
	s_or_b64 s[62:63], s[62:63], s[66:67]
	s_and_saveexec_b64 s[66:67], s[64:65]
	s_cbranch_execz .LBB10_530
; %bb.534:                              ;   in Loop: Header=BB10_531 Depth=3
	s_sleep 1
	s_trap 2
	ds_read_b64 v[4:5], v0
	s_andn2_b64 s[62:63], s[62:63], exec
	s_waitcnt lgkmcnt(0)
	v_cmp_ge_u64_e32 vcc, v[4:5], v[34:35]
	s_orn2_b64 vcc, vcc, exec
	s_branch .LBB10_530
.LBB10_535:                             ;   in Loop: Header=BB10_477 Depth=2
	s_or_b64 exec, exec, s[58:59]
	s_and_saveexec_b64 vcc, s[60:61]
	s_xor_b64 vcc, exec, vcc
	s_cbranch_execz .LBB10_537
; %bb.536:                              ;   in Loop: Header=BB10_477 Depth=2
	ds_write_b32 v0, v42
	s_trap 2
.LBB10_537:                             ;   in Loop: Header=BB10_477 Depth=2
	s_or_b64 exec, exec, s[56:57]
	;;#ASMSTART
	s_wakeup
	;;#ASMEND
.LBB10_538:                             ;   in Loop: Header=BB10_477 Depth=2
	s_or_b64 exec, exec, s[54:55]
.LBB10_539:                             ;   in Loop: Header=BB10_477 Depth=2
	s_andn2_saveexec_b64 vcc, s[52:53]
	s_cbranch_execz .LBB10_541
; %bb.540:                              ;   in Loop: Header=BB10_477 Depth=2
	;;#ASMSTART
	s_waitcnt lgkmcnt(0) vmcnt(0)
	;;#ASMEND
	s_barrier
.LBB10_541:                             ;   in Loop: Header=BB10_477 Depth=2
	s_or_b64 exec, exec, vcc
	s_or_b64 exec, exec, s[28:29]
	v_cmp_ne_u32_e32 vcc, 0, v1
	s_and_saveexec_b64 s[28:29], vcc
	s_cbranch_execz .LBB10_476
.LBB10_542:                             ;   in Loop: Header=BB10_477 Depth=2
	s_and_saveexec_b64 vcc, s[14:15]
	s_cbranch_execz .LBB10_475
; %bb.543:                              ;   in Loop: Header=BB10_477 Depth=2
	flat_store_dword v[36:37], v42
	s_branch .LBB10_475
.LBB10_544:                             ;   in Loop: Header=BB10_81 Depth=1
	s_or_b64 exec, exec, s[34:35]
.LBB10_545:                             ;   in Loop: Header=BB10_81 Depth=1
	s_or_b64 exec, exec, s[30:31]
	s_andn2_saveexec_b64 s[30:31], s[52:53]
	s_cbranch_execnz .LBB10_259
.LBB10_546:                             ;   in Loop: Header=BB10_81 Depth=1
	s_or_b64 exec, exec, s[30:31]
	s_andn2_b64 vcc, exec, s[48:49]
	s_cbranch_vccz .LBB10_549
	s_branch .LBB10_805
.LBB10_547:                             ;   in Loop: Header=BB10_81 Depth=1
	s_or_b64 exec, exec, s[36:37]
.LBB10_548:                             ;   in Loop: Header=BB10_81 Depth=1
	s_or_b64 exec, exec, s[34:35]
	s_or_b64 exec, exec, s[30:31]
	s_andn2_b64 vcc, exec, s[48:49]
	s_cbranch_vccnz .LBB10_805
.LBB10_549:                             ;   in Loop: Header=BB10_81 Depth=1
	s_mov_b32 s68, 1
.LBB10_550:                             ;   Parent Loop BB10_81 Depth=1
                                        ; =>  This Loop Header: Depth=2
                                        ;       Child Loop BB10_553 Depth 3
                                        ;         Child Loop BB10_561 Depth 4
                                        ;         Child Loop BB10_587 Depth 4
	;; [unrolled: 1-line block ×9, first 2 shown]
                                        ;           Child Loop BB10_647 Depth 5
                                        ;         Child Loop BB10_656 Depth 4
                                        ;         Child Loop BB10_661 Depth 4
                                        ;           Child Loop BB10_662 Depth 5
                                        ;         Child Loop BB10_634 Depth 4
                                        ;         Child Loop BB10_713 Depth 4
                                        ;       Child Loop BB10_731 Depth 3
                                        ;         Child Loop BB10_737 Depth 4
                                        ;         Child Loop BB10_775 Depth 4
	;; [unrolled: 1-line block ×3, first 2 shown]
	v_mov_b32_e32 v1, 0
	v_mov_b32_e32 v58, v56
	;; [unrolled: 1-line block ×3, first 2 shown]
	s_and_saveexec_b64 s[52:53], s[26:27]
	s_cbranch_execz .LBB10_728
; %bb.551:                              ;   in Loop: Header=BB10_550 Depth=2
	s_sub_i32 s28, s70, s68
	s_ashr_i32 s29, s28, 31
	s_lshl_b64 s[28:29], s[28:29], 2
	v_accvgpr_read_b32 v2, a6
	v_mov_b32_e32 v0, s29
	v_accvgpr_read_b32 v3, a7
	v_add_co_u32_e32 v2, vcc, s28, v2
	v_addc_co_u32_e32 v3, vcc, v3, v0, vcc
	flat_load_dword v0, v[2:3]
	v_accvgpr_read_b32 v4, a34
	v_accvgpr_read_b32 v2, a15
	;; [unrolled: 1-line block ×4, first 2 shown]
	s_mov_b32 s69, 1
	s_mov_b64 s[56:57], -1
	s_mov_b64 s[54:55], 0
	v_mov_b32_e32 v31, 0
	v_mov_b32_e32 v58, v56
	s_waitcnt vmcnt(0) lgkmcnt(0)
	v_ashrrev_i32_e32 v1, 31, v0
	v_mul_lo_u32 v2, v2, v0
	v_mad_u64_u32 v[60:61], s[28:29], v3, v0, v[4:5]
	v_mul_lo_u32 v0, v3, v1
	v_add3_u32 v61, v2, v61, v0
	s_branch .LBB10_553
.LBB10_552:                             ;   in Loop: Header=BB10_553 Depth=3
	s_or_b64 exec, exec, s[28:29]
	v_add_u32_e32 v31, v58, v31
	v_cmp_ge_i32_e32 vcc, v31, v7
	s_xor_b64 s[28:29], s[56:57], -1
	s_or_b64 s[28:29], s[28:29], vcc
	s_and_b64 s[28:29], exec, s[28:29]
	s_or_b64 s[54:55], s[28:29], s[54:55]
	s_mov_b64 s[56:57], 0
	v_mov_b32_e32 v1, s69
	s_mov_b32 s69, 2
	s_andn2_b64 exec, exec, s[54:55]
	s_cbranch_execz .LBB10_801
.LBB10_553:                             ;   Parent Loop BB10_81 Depth=1
                                        ;     Parent Loop BB10_550 Depth=2
                                        ; =>    This Loop Header: Depth=3
                                        ;         Child Loop BB10_561 Depth 4
                                        ;         Child Loop BB10_587 Depth 4
	;; [unrolled: 1-line block ×9, first 2 shown]
                                        ;           Child Loop BB10_647 Depth 5
                                        ;         Child Loop BB10_656 Depth 4
                                        ;         Child Loop BB10_661 Depth 4
                                        ;           Child Loop BB10_662 Depth 5
                                        ;         Child Loop BB10_634 Depth 4
                                        ;         Child Loop BB10_713 Depth 4
	s_and_saveexec_b64 s[28:29], s[4:5]
	s_cbranch_execz .LBB10_555
; %bb.554:                              ;   in Loop: Header=BB10_553 Depth=3
	s_trap 2
	ds_read_b128 v[2:5], v0
	v_ashrrev_i32_e32 v10, 31, v31
	s_waitcnt lgkmcnt(0)
	v_add_co_u32_e32 v0, vcc, v2, v60
	v_addc_co_u32_e32 v1, vcc, v3, v61, vcc
	v_add_co_u32_e32 v2, vcc, v0, v31
	v_addc_co_u32_e32 v3, vcc, v1, v10, vcc
	ds_write_b64 v0, v[2:3]
	v_add_co_u32_e32 v0, vcc, v4, v60
	v_addc_co_u32_e32 v1, vcc, v5, v61, vcc
	v_add_co_u32_e32 v0, vcc, v0, v31
	v_addc_co_u32_e32 v1, vcc, v1, v10, vcc
	v_cmp_ne_u64_e32 vcc, 0, v[4:5]
	v_cndmask_b32_e32 v3, 0, v1, vcc
	v_cndmask_b32_e32 v2, 0, v0, vcc
	ds_write_b64 v0, v[2:3]
.LBB10_555:                             ;   in Loop: Header=BB10_553 Depth=3
	s_or_b64 exec, exec, s[28:29]
	v_and_b32_e32 v0, 12, v62
	v_cmp_ne_u32_e32 vcc, 0, v0
	s_mov_b64 s[30:31], -1
	s_and_saveexec_b64 s[28:29], vcc
	s_cbranch_execz .LBB10_567
; %bb.556:                              ;   in Loop: Header=BB10_553 Depth=3
	v_and_b32_e32 v2, 8, v62
	v_add_co_u32_e32 v14, vcc, v38, v2
	v_addc_co_u32_e32 v15, vcc, 0, v39, vcc
	v_add_co_u32_e32 v4, vcc, 2, v26
	v_addc_co_u32_e32 v5, vcc, 0, v27, vcc
	v_cmp_lt_u64_e32 vcc, v[14:15], v[4:5]
	v_mov_b32_e32 v1, 1
	s_and_saveexec_b64 s[30:31], vcc
	s_cbranch_execz .LBB10_566
; %bb.557:                              ;   in Loop: Header=BB10_553 Depth=3
	s_mov_b64 s[34:35], 0
	v_mov_b32_e32 v1, 0
                                        ; implicit-def: $sgpr36_sgpr37
	s_branch .LBB10_561
.LBB10_558:                             ;   in Loop: Header=BB10_561 Depth=4
	s_or_b64 exec, exec, s[64:65]
	v_mov_b32_e32 v3, 0
	s_orn2_b64 s[62:63], s[62:63], exec
.LBB10_559:                             ;   in Loop: Header=BB10_561 Depth=4
	s_or_b64 exec, exec, s[60:61]
	s_andn2_b64 vcc, s[36:37], exec
	s_and_b64 s[36:37], s[62:63], exec
	s_or_b64 s[36:37], vcc, s[36:37]
	v_mov_b32_e32 v1, v3
.LBB10_560:                             ;   in Loop: Header=BB10_561 Depth=4
	s_or_b64 exec, exec, s[58:59]
	s_waitcnt vmcnt(0) lgkmcnt(0)
	v_add_co_u32_e32 v14, vcc, v38, v2
	v_addc_co_u32_e32 v15, vcc, 0, v39, vcc
	v_cmp_ge_u64_e32 vcc, v[14:15], v[4:5]
	s_xor_b64 s[58:59], s[36:37], -1
	s_or_b64 vcc, s[58:59], vcc
	s_and_b64 vcc, exec, vcc
	s_or_b64 s[34:35], vcc, s[34:35]
	s_andn2_b64 exec, exec, s[34:35]
	s_cbranch_execz .LBB10_565
.LBB10_561:                             ;   Parent Loop BB10_81 Depth=1
                                        ;     Parent Loop BB10_550 Depth=2
                                        ;       Parent Loop BB10_553 Depth=3
                                        ; =>      This Inner Loop Header: Depth=4
	s_sleep 1
	flat_load_dwordx2 v[38:39], v[28:29] glc
	v_and_b32_e32 v0, 64, v62
	v_cmp_eq_u32_e32 vcc, 0, v0
	s_andn2_b64 s[36:37], s[36:37], exec
	s_and_saveexec_b64 s[58:59], vcc
	s_cbranch_execz .LBB10_560
; %bb.562:                              ;   in Loop: Header=BB10_561 Depth=4
	v_add_u32_e32 v3, 1, v1
	v_cmp_lt_i32_e32 vcc, s72, v1
	s_mov_b64 s[62:63], -1
	s_and_saveexec_b64 s[60:61], vcc
	s_cbranch_execz .LBB10_559
; %bb.563:                              ;   in Loop: Header=BB10_561 Depth=4
	s_trap 2
	ds_read_b64 v[14:15], v0
	s_waitcnt vmcnt(0) lgkmcnt(0)
	flat_load_dword v1, v[14:15] glc
	s_waitcnt vmcnt(0) lgkmcnt(0)
	buffer_invl2
	buffer_wbinvl1_vol
	v_cmp_ne_u32_e32 vcc, 0, v1
	s_and_saveexec_b64 s[64:65], vcc
	s_cbranch_execz .LBB10_558
; %bb.564:                              ;   in Loop: Header=BB10_561 Depth=4
	v_or_b32_e32 v62, 64, v62
	s_xor_b64 s[62:63], exec, -1
	ds_write_b32 v0, v1
	s_trap 2
	s_branch .LBB10_558
.LBB10_565:                             ;   in Loop: Header=BB10_553 Depth=3
	s_or_b64 exec, exec, s[34:35]
	v_and_b32_e32 v1, 12, v62
.LBB10_566:                             ;   in Loop: Header=BB10_553 Depth=3
	s_or_b64 exec, exec, s[30:31]
	v_cmp_eq_u32_e32 vcc, 0, v1
	s_orn2_b64 s[30:31], vcc, exec
	;;#ASMSTART
	s_wakeup
	;;#ASMEND
.LBB10_567:                             ;   in Loop: Header=BB10_553 Depth=3
	s_or_b64 exec, exec, s[28:29]
	v_sub_u32_e32 v0, v7, v31
	s_xor_b64 s[28:29], s[30:31], -1
	v_min_i32_e32 v58, v58, v0
	s_and_saveexec_b64 s[30:31], s[28:29]
	s_cbranch_execz .LBB10_579
; %bb.568:                              ;   in Loop: Header=BB10_553 Depth=3
	v_and_b32_e32 v0, 0x108, v62
	v_cmp_ne_u32_e32 vcc, s73, v0
	v_and_b32_e32 v2, 7, v26
	s_and_saveexec_b64 s[28:29], vcc
	s_xor_b64 s[28:29], exec, s[28:29]
	s_andn2_saveexec_b64 s[28:29], s[28:29]
	s_cbranch_execz .LBB10_570
; %bb.569:                              ;   in Loop: Header=BB10_553 Depth=3
	v_mad_u64_u32 v[4:5], vcc, v2, 24, v[12:13]
	v_ashrrev_i32_e32 v59, 31, v58
	flat_store_dwordx2 v[4:5], v[58:59] offset:8
.LBB10_570:                             ;   in Loop: Header=BB10_553 Depth=3
	s_or_b64 exec, exec, s[28:29]
	v_and_b32_e32 v0, 0x100, v62
	v_cmp_ne_u32_e32 vcc, 0, v0
	s_mov_b64 s[28:29], -1
                                        ; implicit-def: $vgpr4_vgpr5
	s_and_saveexec_b64 s[34:35], vcc
	s_cbranch_execz .LBB10_574
; %bb.571:                              ;   in Loop: Header=BB10_553 Depth=3
	v_mad_u64_u32 v[14:15], s[28:29], v2, 24, v[12:13]
	v_mov_b32_e32 v4, v15
	v_mad_u64_u32 v[4:5], s[28:29], v49, 24, v[4:5]
	v_mov_b32_e32 v15, v4
	flat_load_dword v0, v[14:15]
                                        ; implicit-def: $vgpr4_vgpr5
	s_waitcnt vmcnt(0) lgkmcnt(0)
	v_cmp_ne_u32_e32 vcc, 1, v0
	v_cmp_eq_u32_e64 s[28:29], 1, v0
	s_and_saveexec_b64 s[36:37], s[28:29]
	s_cbranch_execz .LBB10_573
; %bb.572:                              ;   in Loop: Header=BB10_553 Depth=3
	flat_load_dword v4, v[14:15] offset:4 glc
	s_waitcnt vmcnt(0) lgkmcnt(0)
	v_ashrrev_i32_e32 v5, 31, v4
.LBB10_573:                             ;   in Loop: Header=BB10_553 Depth=3
	s_or_b64 exec, exec, s[36:37]
	s_orn2_b64 s[28:29], vcc, exec
.LBB10_574:                             ;   in Loop: Header=BB10_553 Depth=3
	s_or_b64 exec, exec, s[34:35]
	s_and_saveexec_b64 vcc, s[28:29]
; %bb.575:                              ;   in Loop: Header=BB10_553 Depth=3
	v_mul_lo_u32 v0, v49, v30
	v_mul_lo_u32 v1, v2, v43
	v_mad_u64_u32 v[4:5], s[28:29], v2, v30, 0
	v_add3_u32 v5, v5, v1, v0
; %bb.576:                              ;   in Loop: Header=BB10_553 Depth=3
	s_or_b64 exec, exec, vcc
	v_add_co_u32_e32 v2, vcc, v32, v4
	v_addc_co_u32_e32 v3, vcc, v33, v5, vcc
	s_trap 2
	ds_write_b64 v0, v[2:3]
	v_and_b32_e32 v0, 0x2000, v62
	v_cmp_ne_u32_e32 vcc, 0, v0
	s_and_saveexec_b64 s[28:29], vcc
	s_cbranch_execz .LBB10_578
; %bb.577:                              ;   in Loop: Header=BB10_553 Depth=3
	ds_read_b64 v[2:3], v0 offset:584
	s_waitcnt lgkmcnt(0)
	v_add_co_u32_e32 v2, vcc, 1, v2
	v_addc_co_u32_e32 v3, vcc, 0, v3, vcc
	ds_write_b64 v0, v[2:3] offset:584
.LBB10_578:                             ;   in Loop: Header=BB10_553 Depth=3
	s_or_b64 exec, exec, s[28:29]
	v_add_co_u32_e32 v26, vcc, 2, v26
	v_addc_co_u32_e32 v27, vcc, 0, v27, vcc
.LBB10_579:                             ;   in Loop: Header=BB10_553 Depth=3
	s_or_b64 exec, exec, s[30:31]
	s_and_saveexec_b64 s[28:29], s[10:11]
	s_cbranch_execz .LBB10_598
; %bb.580:                              ;   in Loop: Header=BB10_553 Depth=3
	s_and_saveexec_b64 vcc, s[46:47]
	s_xor_b64 s[30:31], exec, vcc
	s_cbranch_execz .LBB10_595
; %bb.581:                              ;   in Loop: Header=BB10_553 Depth=3
	s_and_saveexec_b64 s[34:35], s[16:17]
	s_cbranch_execz .LBB10_594
; %bb.582:                              ;   in Loop: Header=BB10_553 Depth=3
	s_mov_b64 s[58:59], exec
	v_mbcnt_lo_u32_b32 v0, s58, 0
	v_mbcnt_hi_u32_b32 v0, s59, v0
	v_cmp_eq_u32_e32 vcc, 0, v0
	s_waitcnt vmcnt(0) lgkmcnt(0)
	buffer_wbinvl1_vol
	s_and_saveexec_b64 s[36:37], vcc
	s_cbranch_execz .LBB10_584
; %bb.583:                              ;   in Loop: Header=BB10_553 Depth=3
	s_bcnt1_i32_b64 vcc_lo, s[58:59]
	v_mov_b32_e32 v48, vcc_lo
	ds_add_u64 v0, v[48:49]
	s_trap 2
.LBB10_584:                             ;   in Loop: Header=BB10_553 Depth=3
	s_or_b64 exec, exec, s[36:37]
	s_trap 2
	ds_read_b64 v[2:3], v0
	v_add_co_u32_e32 v34, vcc, v34, v50
	v_addc_co_u32_e32 v35, vcc, 0, v35, vcc
	s_waitcnt lgkmcnt(0)
	v_cmp_lt_u64_e32 vcc, v[2:3], v[34:35]
	s_and_saveexec_b64 s[36:37], vcc
	s_cbranch_execz .LBB10_593
; %bb.585:                              ;   in Loop: Header=BB10_553 Depth=3
	s_mov_b32 s76, 0
	s_mov_b64 s[58:59], 0
                                        ; implicit-def: $sgpr60_sgpr61
                                        ; implicit-def: $sgpr62_sgpr63
	s_branch .LBB10_587
.LBB10_586:                             ;   in Loop: Header=BB10_587 Depth=4
	s_or_b64 exec, exec, s[66:67]
	s_and_b64 vcc, exec, vcc
	s_or_b64 s[58:59], vcc, s[58:59]
	s_andn2_b64 vcc, s[60:61], exec
	s_and_b64 s[60:61], s[62:63], exec
	s_or_b64 s[60:61], vcc, s[60:61]
	s_andn2_b64 exec, exec, s[58:59]
	s_cbranch_execz .LBB10_591
.LBB10_587:                             ;   Parent Loop BB10_81 Depth=1
                                        ;     Parent Loop BB10_550 Depth=2
                                        ;       Parent Loop BB10_553 Depth=3
                                        ; =>      This Inner Loop Header: Depth=4
	s_add_i32 s76, s76, 1
	s_cmpk_lg_i32 s76, 0x2710
	s_cselect_b64 s[64:65], -1, 0
	s_and_b64 vcc, exec, s[64:65]
                                        ; implicit-def: $sgpr66_sgpr67
	s_cbranch_vccnz .LBB10_589
; %bb.588:                              ;   in Loop: Header=BB10_587 Depth=4
	s_trap 2
	ds_read_b64 v[2:3], v0
	s_andn2_b64 s[64:65], s[64:65], exec
	s_mov_b32 s76, 0
	s_mov_b64 s[66:67], -1
	s_waitcnt lgkmcnt(0)
	flat_load_dword v0, v[2:3] glc
	s_waitcnt vmcnt(0) lgkmcnt(0)
	buffer_invl2
	buffer_wbinvl1_vol
	v_cmp_eq_u32_e32 vcc, 0, v0
	s_and_b64 vcc, vcc, exec
	s_or_b64 s[64:65], s[64:65], vcc
.LBB10_589:                             ;   in Loop: Header=BB10_587 Depth=4
	s_andn2_b64 s[62:63], s[62:63], exec
	s_and_b64 s[66:67], s[66:67], exec
	s_mov_b64 vcc, -1
	s_or_b64 s[62:63], s[62:63], s[66:67]
	s_and_saveexec_b64 s[66:67], s[64:65]
	s_cbranch_execz .LBB10_586
; %bb.590:                              ;   in Loop: Header=BB10_587 Depth=4
	s_sleep 1
	s_trap 2
	ds_read_b64 v[2:3], v0
	s_andn2_b64 s[62:63], s[62:63], exec
	s_waitcnt lgkmcnt(0)
	v_cmp_ge_u64_e32 vcc, v[2:3], v[34:35]
	s_orn2_b64 vcc, vcc, exec
	s_branch .LBB10_586
.LBB10_591:                             ;   in Loop: Header=BB10_553 Depth=3
	s_or_b64 exec, exec, s[58:59]
	s_and_saveexec_b64 vcc, s[60:61]
	s_xor_b64 vcc, exec, vcc
	s_cbranch_execz .LBB10_593
; %bb.592:                              ;   in Loop: Header=BB10_553 Depth=3
	ds_write_b32 v0, v42
	s_trap 2
.LBB10_593:                             ;   in Loop: Header=BB10_553 Depth=3
	s_or_b64 exec, exec, s[36:37]
	;;#ASMSTART
	s_wakeup
	;;#ASMEND
.LBB10_594:                             ;   in Loop: Header=BB10_553 Depth=3
	s_or_b64 exec, exec, s[34:35]
.LBB10_595:                             ;   in Loop: Header=BB10_553 Depth=3
	s_andn2_saveexec_b64 vcc, s[30:31]
	s_cbranch_execz .LBB10_597
; %bb.596:                              ;   in Loop: Header=BB10_553 Depth=3
	s_waitcnt vmcnt(0) lgkmcnt(0)
	buffer_wbinvl1_vol
	s_barrier
.LBB10_597:                             ;   in Loop: Header=BB10_553 Depth=3
	s_or_b64 exec, exec, vcc
.LBB10_598:                             ;   in Loop: Header=BB10_553 Depth=3
	s_or_b64 exec, exec, s[28:29]
	s_trap 2
	ds_read_b32 v1, v0
	v_and_b32_e32 v0, 0x4000, v62
	v_cmp_ne_u32_e32 vcc, 0, v0
	s_xor_b64 s[28:29], s[6:7], -1
	s_and_b64 vcc, s[28:29], vcc
	s_and_saveexec_b64 s[28:29], vcc
	s_cbranch_execz .LBB10_617
; %bb.599:                              ;   in Loop: Header=BB10_553 Depth=3
	s_and_saveexec_b64 vcc, s[46:47]
	s_xor_b64 s[30:31], exec, vcc
	s_cbranch_execz .LBB10_614
; %bb.600:                              ;   in Loop: Header=BB10_553 Depth=3
	s_and_saveexec_b64 s[34:35], s[16:17]
	s_cbranch_execz .LBB10_613
; %bb.601:                              ;   in Loop: Header=BB10_553 Depth=3
	s_mov_b64 s[58:59], exec
	v_mbcnt_lo_u32_b32 v0, s58, 0
	v_mbcnt_hi_u32_b32 v0, s59, v0
	v_cmp_eq_u32_e32 vcc, 0, v0
	s_waitcnt vmcnt(0) lgkmcnt(0)
	buffer_wbinvl1_vol
	s_and_saveexec_b64 s[36:37], vcc
	s_cbranch_execz .LBB10_603
; %bb.602:                              ;   in Loop: Header=BB10_553 Depth=3
	s_bcnt1_i32_b64 vcc_lo, s[58:59]
	v_mov_b32_e32 v48, vcc_lo
	ds_add_u64 v0, v[48:49]
	s_trap 2
.LBB10_603:                             ;   in Loop: Header=BB10_553 Depth=3
	s_or_b64 exec, exec, s[36:37]
	s_trap 2
	ds_read_b64 v[2:3], v0
	v_add_co_u32_e32 v34, vcc, v34, v50
	v_addc_co_u32_e32 v35, vcc, 0, v35, vcc
	s_waitcnt lgkmcnt(0)
	v_cmp_lt_u64_e32 vcc, v[2:3], v[34:35]
	s_and_saveexec_b64 s[36:37], vcc
	s_cbranch_execz .LBB10_612
; %bb.604:                              ;   in Loop: Header=BB10_553 Depth=3
	s_mov_b32 s76, 0
	s_mov_b64 s[58:59], 0
                                        ; implicit-def: $sgpr60_sgpr61
                                        ; implicit-def: $sgpr62_sgpr63
	s_branch .LBB10_606
.LBB10_605:                             ;   in Loop: Header=BB10_606 Depth=4
	s_or_b64 exec, exec, s[66:67]
	s_and_b64 vcc, exec, vcc
	s_or_b64 s[58:59], vcc, s[58:59]
	s_andn2_b64 vcc, s[60:61], exec
	s_and_b64 s[60:61], s[62:63], exec
	s_or_b64 s[60:61], vcc, s[60:61]
	s_andn2_b64 exec, exec, s[58:59]
	s_cbranch_execz .LBB10_610
.LBB10_606:                             ;   Parent Loop BB10_81 Depth=1
                                        ;     Parent Loop BB10_550 Depth=2
                                        ;       Parent Loop BB10_553 Depth=3
                                        ; =>      This Inner Loop Header: Depth=4
	s_add_i32 s76, s76, 1
	s_cmpk_lg_i32 s76, 0x2710
	s_cselect_b64 s[64:65], -1, 0
	s_and_b64 vcc, exec, s[64:65]
                                        ; implicit-def: $sgpr66_sgpr67
	s_cbranch_vccnz .LBB10_608
; %bb.607:                              ;   in Loop: Header=BB10_606 Depth=4
	s_trap 2
	ds_read_b64 v[2:3], v0
	s_andn2_b64 s[64:65], s[64:65], exec
	s_mov_b32 s76, 0
	s_mov_b64 s[66:67], -1
	s_waitcnt lgkmcnt(0)
	flat_load_dword v0, v[2:3] glc
	s_waitcnt vmcnt(0) lgkmcnt(0)
	buffer_invl2
	buffer_wbinvl1_vol
	v_cmp_eq_u32_e32 vcc, 0, v0
	s_and_b64 vcc, vcc, exec
	s_or_b64 s[64:65], s[64:65], vcc
.LBB10_608:                             ;   in Loop: Header=BB10_606 Depth=4
	s_andn2_b64 s[62:63], s[62:63], exec
	s_and_b64 s[66:67], s[66:67], exec
	s_mov_b64 vcc, -1
	s_or_b64 s[62:63], s[62:63], s[66:67]
	s_and_saveexec_b64 s[66:67], s[64:65]
	s_cbranch_execz .LBB10_605
; %bb.609:                              ;   in Loop: Header=BB10_606 Depth=4
	s_sleep 1
	s_trap 2
	ds_read_b64 v[2:3], v0
	s_andn2_b64 s[62:63], s[62:63], exec
	s_waitcnt lgkmcnt(0)
	v_cmp_ge_u64_e32 vcc, v[2:3], v[34:35]
	s_orn2_b64 vcc, vcc, exec
	s_branch .LBB10_605
.LBB10_610:                             ;   in Loop: Header=BB10_553 Depth=3
	s_or_b64 exec, exec, s[58:59]
	s_and_saveexec_b64 vcc, s[60:61]
	s_xor_b64 vcc, exec, vcc
	s_cbranch_execz .LBB10_612
; %bb.611:                              ;   in Loop: Header=BB10_553 Depth=3
	ds_write_b32 v0, v42
	s_trap 2
.LBB10_612:                             ;   in Loop: Header=BB10_553 Depth=3
	s_or_b64 exec, exec, s[36:37]
	;;#ASMSTART
	s_wakeup
	;;#ASMEND
.LBB10_613:                             ;   in Loop: Header=BB10_553 Depth=3
	s_or_b64 exec, exec, s[34:35]
.LBB10_614:                             ;   in Loop: Header=BB10_553 Depth=3
	s_andn2_saveexec_b64 vcc, s[30:31]
	s_cbranch_execz .LBB10_616
; %bb.615:                              ;   in Loop: Header=BB10_553 Depth=3
	s_waitcnt vmcnt(0) lgkmcnt(0)
	buffer_wbinvl1_vol
	s_barrier
.LBB10_616:                             ;   in Loop: Header=BB10_553 Depth=3
	s_or_b64 exec, exec, vcc
.LBB10_617:                             ;   in Loop: Header=BB10_553 Depth=3
	s_or_b64 exec, exec, s[28:29]
	s_trap 2
	ds_read_b64 v[2:3], v0
	v_mov_b32_e32 v59, 0
	s_waitcnt lgkmcnt(0)
	v_readfirstlane_b32 s28, v2
	v_readfirstlane_b32 s29, v3
	s_cmp_eq_u64 s[28:29], 0
	s_cselect_b64 s[28:29], -1, 0
	s_or_b64 s[28:29], s[28:29], s[28:29]
	s_and_b64 vcc, exec, s[28:29]
	s_cbranch_vccnz .LBB10_626
; %bb.618:                              ;   in Loop: Header=BB10_553 Depth=3
	s_trap 2
	ds_read_b64 v[2:3], v0
	v_cmp_eq_u32_e64 s[28:29], 0, v1
	v_cndmask_b32_e64 v59, 0, v58, s[28:29]
	s_waitcnt lgkmcnt(0)
	v_cmp_ne_u64_e32 vcc, 0, v[2:3]
	s_cbranch_vccz .LBB10_638
; %bb.619:                              ;   in Loop: Header=BB10_553 Depth=3
	s_mov_b64 s[30:31], -1
	s_and_saveexec_b64 s[28:29], s[22:23]
	s_cbranch_execz .LBB10_621
; %bb.620:                              ;   in Loop: Header=BB10_553 Depth=3
	ds_read_b32 v0, v0 offset:720
	s_waitcnt lgkmcnt(0)
	v_and_b32_e32 v0, 15, v0
	v_cmp_eq_u32_e32 vcc, 0, v0
	s_orn2_b64 s[30:31], vcc, exec
.LBB10_621:                             ;   in Loop: Header=BB10_553 Depth=3
	s_or_b64 exec, exec, s[28:29]
	s_and_saveexec_b64 s[28:29], s[20:21]
	s_cbranch_execz .LBB10_623
; %bb.622:                              ;   in Loop: Header=BB10_553 Depth=3
	ds_read_b32 v0, v0 offset:784
	s_waitcnt lgkmcnt(0)
	v_and_b32_e32 v0, 15, v0
	v_cmp_eq_u32_e32 vcc, 0, v0
	s_and_b64 vcc, s[30:31], vcc
	s_andn2_b64 s[30:31], s[30:31], exec
	s_and_b64 vcc, vcc, exec
	s_or_b64 s[30:31], s[30:31], vcc
.LBB10_623:                             ;   in Loop: Header=BB10_553 Depth=3
	s_or_b64 exec, exec, s[28:29]
	s_xor_b64 vcc, s[30:31], -1
	v_cndmask_b32_e64 v0, 0, 1, vcc
	s_mov_b64 s[28:29], -1
	;;#ASMSTART
	;;#ASMEND
	v_cmp_ne_u32_e32 vcc, 0, v0
	v_mov_b32_e32 v22, 0
	v_mov_b32_e32 v23, v59
	;; [unrolled: 1-line block ×4, first 2 shown]
	s_cbranch_vccz .LBB10_639
; %bb.624:                              ;   in Loop: Header=BB10_553 Depth=3
	s_and_saveexec_b64 s[34:35], s[28:29]
	s_cbranch_execnz .LBB10_654
.LBB10_625:                             ;   in Loop: Header=BB10_553 Depth=3
	s_or_b64 exec, exec, s[34:35]
.LBB10_626:                             ;   in Loop: Header=BB10_553 Depth=3
	s_and_saveexec_b64 s[28:29], s[10:11]
	s_cbranch_execz .LBB10_672
.LBB10_627:                             ;   in Loop: Header=BB10_553 Depth=3
	s_and_saveexec_b64 vcc, s[46:47]
	s_xor_b64 s[30:31], exec, vcc
	s_cbranch_execz .LBB10_702
; %bb.628:                              ;   in Loop: Header=BB10_553 Depth=3
	s_and_saveexec_b64 s[34:35], s[16:17]
	s_cbranch_execz .LBB10_701
; %bb.629:                              ;   in Loop: Header=BB10_553 Depth=3
	s_mov_b64 s[58:59], exec
	v_mbcnt_lo_u32_b32 v0, s58, 0
	v_mbcnt_hi_u32_b32 v0, s59, v0
	v_cmp_eq_u32_e32 vcc, 0, v0
	s_waitcnt vmcnt(0) lgkmcnt(0)
	buffer_wbinvl1_vol
	s_and_saveexec_b64 s[36:37], vcc
	s_cbranch_execz .LBB10_631
; %bb.630:                              ;   in Loop: Header=BB10_553 Depth=3
	s_bcnt1_i32_b64 vcc_lo, s[58:59]
	v_mov_b32_e32 v48, vcc_lo
	ds_add_u64 v0, v[48:49]
	s_trap 2
.LBB10_631:                             ;   in Loop: Header=BB10_553 Depth=3
	s_or_b64 exec, exec, s[36:37]
	s_trap 2
	ds_read_b64 v[2:3], v0
	v_add_co_u32_e32 v34, vcc, v34, v50
	v_addc_co_u32_e32 v35, vcc, 0, v35, vcc
	s_waitcnt lgkmcnt(0)
	v_cmp_lt_u64_e32 vcc, v[2:3], v[34:35]
	s_and_saveexec_b64 s[36:37], vcc
	s_cbranch_execz .LBB10_700
; %bb.632:                              ;   in Loop: Header=BB10_553 Depth=3
	s_mov_b32 s76, 0
	s_mov_b64 s[58:59], 0
                                        ; implicit-def: $sgpr60_sgpr61
                                        ; implicit-def: $sgpr62_sgpr63
	s_branch .LBB10_634
.LBB10_633:                             ;   in Loop: Header=BB10_634 Depth=4
	s_or_b64 exec, exec, s[66:67]
	s_and_b64 vcc, exec, vcc
	s_or_b64 s[58:59], vcc, s[58:59]
	s_andn2_b64 vcc, s[60:61], exec
	s_and_b64 s[60:61], s[62:63], exec
	s_or_b64 s[60:61], vcc, s[60:61]
	s_andn2_b64 exec, exec, s[58:59]
	s_cbranch_execz .LBB10_698
.LBB10_634:                             ;   Parent Loop BB10_81 Depth=1
                                        ;     Parent Loop BB10_550 Depth=2
                                        ;       Parent Loop BB10_553 Depth=3
                                        ; =>      This Inner Loop Header: Depth=4
	s_add_i32 s76, s76, 1
	s_cmpk_lg_i32 s76, 0x2710
	s_cselect_b64 s[64:65], -1, 0
	s_and_b64 vcc, exec, s[64:65]
                                        ; implicit-def: $sgpr66_sgpr67
	s_cbranch_vccnz .LBB10_636
; %bb.635:                              ;   in Loop: Header=BB10_634 Depth=4
	s_trap 2
	ds_read_b64 v[2:3], v0
	s_andn2_b64 s[64:65], s[64:65], exec
	s_mov_b32 s76, 0
	s_mov_b64 s[66:67], -1
	s_waitcnt lgkmcnt(0)
	flat_load_dword v0, v[2:3] glc
	s_waitcnt vmcnt(0) lgkmcnt(0)
	buffer_invl2
	buffer_wbinvl1_vol
	v_cmp_eq_u32_e32 vcc, 0, v0
	s_and_b64 vcc, vcc, exec
	s_or_b64 s[64:65], s[64:65], vcc
.LBB10_636:                             ;   in Loop: Header=BB10_634 Depth=4
	s_andn2_b64 s[62:63], s[62:63], exec
	s_and_b64 s[66:67], s[66:67], exec
	s_mov_b64 vcc, -1
	s_or_b64 s[62:63], s[62:63], s[66:67]
	s_and_saveexec_b64 s[66:67], s[64:65]
	s_cbranch_execz .LBB10_633
; %bb.637:                              ;   in Loop: Header=BB10_634 Depth=4
	s_sleep 1
	s_trap 2
	ds_read_b64 v[2:3], v0
	s_andn2_b64 s[62:63], s[62:63], exec
	s_waitcnt lgkmcnt(0)
	v_cmp_ge_u64_e32 vcc, v[2:3], v[34:35]
	s_orn2_b64 vcc, vcc, exec
	s_branch .LBB10_633
.LBB10_638:                             ;   in Loop: Header=BB10_553 Depth=3
	s_cbranch_execnz .LBB10_665
	s_branch .LBB10_626
.LBB10_639:                             ;   in Loop: Header=BB10_553 Depth=3
	v_ashrrev_i32_e32 v0, 31, v59
	v_lshrrev_b32_e32 v0, 21, v0
	v_add_u32_e32 v0, v59, v0
	v_ashrrev_i32_e32 v1, 11, v0
	v_sub_u32_e32 v10, v1, v53
	v_cmp_lt_i32_e32 vcc, 0, v10
	s_and_saveexec_b64 s[28:29], vcc
	s_cbranch_execz .LBB10_643
; %bb.640:                              ;   in Loop: Header=BB10_553 Depth=3
	s_trap 2
	ds_read_b64 v[2:3], v0
	ds_read_b128 v[14:17], v0
	v_accvgpr_read_b32 v18, a32
	v_accvgpr_read_b32 v19, a33
	s_mov_b64 s[30:31], 0
	s_waitcnt lgkmcnt(0)
	v_add_co_u32_e32 v2, vcc, v2, v18
	v_addc_co_u32_e32 v3, vcc, v3, v19, vcc
	v_add_co_u32_e32 v4, vcc, v14, v18
	v_addc_co_u32_e32 v5, vcc, v15, v19, vcc
	;; [unrolled: 2-line block ×3, first 2 shown]
.LBB10_641:                             ;   Parent Loop BB10_81 Depth=1
                                        ;     Parent Loop BB10_550 Depth=2
                                        ;       Parent Loop BB10_553 Depth=3
                                        ; =>      This Inner Loop Header: Depth=4
	global_load_dwordx4 v[16:19], v[2:3], off glc slc
	global_load_dwordx4 v[44:47], v[2:3], off offset:1024 glc slc
	v_add_co_u32_e32 v2, vcc, v2, v20
	v_addc_co_u32_e32 v3, vcc, v3, v21, vcc
	v_sub_u32_e32 v10, v10, v50
	v_cmp_gt_i32_e32 vcc, 1, v10
	s_or_b64 s[30:31], vcc, s[30:31]
	s_waitcnt vmcnt(0)
	global_store_dwordx4 v[4:5], v[16:19], off glc slc
	global_store_dwordx4 v[4:5], v[44:47], off offset:1024 glc slc
	global_store_dwordx4 v[14:15], v[16:19], off glc slc
	global_store_dwordx4 v[14:15], v[44:47], off offset:1024 glc slc
	v_add_co_u32_e32 v4, vcc, v4, v20
	v_addc_co_u32_e32 v5, vcc, v5, v21, vcc
	v_add_co_u32_e32 v14, vcc, v14, v20
	v_addc_co_u32_e32 v15, vcc, v15, v21, vcc
	s_andn2_b64 exec, exec, s[30:31]
	s_cbranch_execnz .LBB10_641
; %bb.642:                              ;   in Loop: Header=BB10_553 Depth=3
	s_or_b64 exec, exec, s[30:31]
.LBB10_643:                             ;   in Loop: Header=BB10_553 Depth=3
	s_or_b64 exec, exec, s[28:29]
	v_lshlrev_b32_e32 v1, 11, v1
	v_cmp_ne_u32_e32 vcc, v59, v1
	s_mov_b64 s[28:29], 0
	v_mov_b32_e32 v22, 0
                                        ; implicit-def: $vgpr23
                                        ; implicit-def: $vgpr48
                                        ; implicit-def: $vgpr2
	s_and_saveexec_b64 s[58:59], vcc
	s_cbranch_execz .LBB10_653
; %bb.644:                              ;   in Loop: Header=BB10_553 Depth=3
	v_lshlrev_b32_e32 v2, 6, v10
	v_accvgpr_read_b32 v3, a28
	v_sub_u32_e32 v2, v3, v2
	v_ashrrev_i32_e32 v3, 31, v2
	v_lshrrev_b32_e32 v3, 26, v3
	v_add_u32_e32 v3, v2, v3
	v_sub_u32_e32 v0, v59, v1
	v_ashrrev_i32_e32 v4, 6, v3
	v_and_b32_e32 v3, 0xffffffc0, v3
	v_sub_u32_e32 v10, v2, v3
	v_ashrrev_i32_e32 v3, 31, v0
	v_lshrrev_b32_e32 v3, 22, v3
	v_add_u32_e32 v3, v0, v3
	v_and_b32_e32 v18, 0xfffffc00, v3
	v_lshlrev_b32_e32 v2, 4, v10
	v_sub_u32_e32 v52, v0, v18
	v_lshl_add_u32 v2, v4, 10, v2
	v_ashrrev_i32_e32 v5, 10, v3
	v_cmp_lt_i32_e64 s[28:29], 15, v52
	v_sub_u32_e32 v48, v0, v2
	v_addc_co_u32_e64 v0, vcc, 0, v5, s[28:29]
	v_sub_u32_e32 v19, v0, v4
	v_cmp_lt_i32_e32 vcc, 15, v48
	s_and_saveexec_b64 s[60:61], vcc
	s_cbranch_execz .LBB10_650
; %bb.645:                              ;   in Loop: Header=BB10_553 Depth=3
	s_trap 2
	ds_read_b64 v[14:15], v0
	v_add_u32_e32 v0, v2, v1
	ds_read_b128 v[2:5], v0
	v_ashrrev_i32_e32 v16, 31, v0
	s_mov_b64 s[62:63], 0
	s_waitcnt lgkmcnt(0)
	v_add_co_u32_e32 v22, vcc, v14, v0
	v_addc_co_u32_e32 v23, vcc, v15, v16, vcc
	v_add_co_u32_e32 v2, vcc, v2, v0
	v_addc_co_u32_e32 v3, vcc, v3, v16, vcc
	v_add_co_u32_e32 v4, vcc, v4, v0
	v_addc_co_u32_e32 v5, vcc, v5, v16, vcc
.LBB10_646:                             ;   Parent Loop BB10_81 Depth=1
                                        ;     Parent Loop BB10_550 Depth=2
                                        ;       Parent Loop BB10_553 Depth=3
                                        ; =>      This Loop Header: Depth=4
                                        ;           Child Loop BB10_647 Depth 5
	global_load_dwordx4 v[14:17], v[22:23], off glc slc
	s_mov_b64 s[66:67], -1
	s_mov_b64 s[64:65], 0
	s_waitcnt vmcnt(0)
.LBB10_647:                             ;   Parent Loop BB10_81 Depth=1
                                        ;     Parent Loop BB10_550 Depth=2
                                        ;       Parent Loop BB10_553 Depth=3
                                        ;         Parent Loop BB10_646 Depth=4
                                        ; =>        This Inner Loop Header: Depth=5
	s_cmp_eq_u32 s64, 0
	s_cselect_b64 s[30:31], -1, 0
	s_cmp_eq_u32 s64, 1
	s_cselect_b64 s[36:37], -1, 0
	v_cndmask_b32_e64 v0, 0, 1, s[66:67]
	v_cndmask_b32_e64 v44, v2, v4, s[36:37]
	v_cmp_ne_u32_e64 s[34:35], 1, v0
	v_cndmask_b32_e64 v45, v3, v5, s[36:37]
	v_add_co_u32_e32 v0, vcc, 0x400, v44
	v_addc_co_u32_e32 v24, vcc, 0, v45, vcc
	s_mov_b64 s[66:67], 0
	s_mov_b64 s[64:65], 1
	v_cndmask_b32_e64 v4, v4, v0, s[36:37]
	s_and_b64 vcc, exec, s[34:35]
	v_cndmask_b32_e64 v5, v5, v24, s[36:37]
	v_cndmask_b32_e64 v3, v3, v24, s[30:31]
	;; [unrolled: 1-line block ×3, first 2 shown]
	global_store_dwordx4 v[44:45], v[14:17], off glc slc
	s_cbranch_vccz .LBB10_647
; %bb.648:                              ;   in Loop: Header=BB10_646 Depth=4
	v_add_co_u32_e32 v2, vcc, v2, v54
	v_addc_co_u32_e32 v3, vcc, v3, v57, vcc
	v_add_co_u32_e32 v4, vcc, v4, v54
	v_addc_co_u32_e32 v5, vcc, v5, v57, vcc
	v_add_co_u32_e32 v22, vcc, v11, v22
	v_addc_co_u32_e32 v23, vcc, v6, v23, vcc
	v_sub_u32_e32 v48, v48, v51
	v_cmp_gt_i32_e32 vcc, 16, v48
	s_or_b64 s[62:63], vcc, s[62:63]
	v_sub_u32_e32 v19, v19, v50
	s_andn2_b64 exec, exec, s[62:63]
	s_cbranch_execnz .LBB10_646
; %bb.649:                              ;   in Loop: Header=BB10_553 Depth=3
	s_or_b64 exec, exec, s[62:63]
.LBB10_650:                             ;   in Loop: Header=BB10_553 Depth=3
	s_or_b64 exec, exec, s[60:61]
	v_and_b32_e32 v3, 15, v59
	v_cndmask_b32_e64 v23, v52, v3, s[28:29]
	v_cmp_ne_u32_e32 vcc, 0, v23
	s_mov_b64 s[30:31], 0
	v_mov_b32_e32 v22, 0
                                        ; implicit-def: $vgpr48
                                        ; implicit-def: $vgpr2
	s_and_saveexec_b64 s[34:35], vcc
	s_cbranch_execz .LBB10_652
; %bb.651:                              ;   in Loop: Header=BB10_553 Depth=3
	v_sub_u32_e32 v0, v52, v3
	v_cndmask_b32_e64 v0, 0, v0, s[28:29]
	v_cmp_lt_i32_e32 vcc, 0, v19
	v_add3_u32 v22, v18, v1, v0
	v_cndmask_b32_e32 v0, 0, v50, vcc
	v_sub_u32_e32 v0, v0, v19
	v_lshl_add_u32 v48, v0, 6, v10
	v_ashrrev_i32_e32 v0, 31, v48
	v_lshrrev_b32_e32 v0, 26, v0
	v_add_u32_e32 v0, v48, v0
	s_mov_b64 s[30:31], exec
	v_ashrrev_i32_e32 v2, 6, v0
.LBB10_652:                             ;   in Loop: Header=BB10_553 Depth=3
	s_or_b64 exec, exec, s[34:35]
	s_and_b64 s[28:29], s[30:31], exec
.LBB10_653:                             ;   in Loop: Header=BB10_553 Depth=3
	s_or_b64 exec, exec, s[58:59]
	s_and_saveexec_b64 s[34:35], s[28:29]
	s_cbranch_execz .LBB10_625
.LBB10_654:                             ;   in Loop: Header=BB10_553 Depth=3
	v_ashrrev_i32_e32 v0, 31, v23
	v_lshrrev_b32_e32 v0, 22, v0
	v_add_u32_e32 v0, v23, v0
	v_ashrrev_i32_e32 v18, 10, v0
	v_sub_u32_e32 v1, v18, v2
	v_ashrrev_i32_e32 v0, 31, v48
	v_cmp_lt_i32_e32 vcc, 0, v1
	v_lshrrev_b32_e32 v10, 26, v0
	s_and_saveexec_b64 s[28:29], vcc
	s_cbranch_execz .LBB10_658
; %bb.655:                              ;   in Loop: Header=BB10_553 Depth=3
	v_add_u32_e32 v0, v48, v10
	v_and_b32_e32 v0, 0xffffffc0, v0
	v_sub_u32_e32 v0, v48, v0
	s_trap 2
	ds_read_b64 v[44:45], v0
	ds_read_b128 v[14:17], v0
	v_lshlrev_b32_e32 v2, 10, v2
	v_add3_u32 v0, v22, v0, v2
	v_ashrrev_i32_e32 v19, 31, v0
	v_accvgpr_write_b32 a4, v41
	s_waitcnt lgkmcnt(0)
	v_add_co_u32_e32 v2, vcc, v14, v0
	v_addc_co_u32_e32 v3, vcc, v15, v19, vcc
	v_add_co_u32_e32 v4, vcc, v16, v0
	v_addc_co_u32_e32 v5, vcc, v17, v19, vcc
	;; [unrolled: 2-line block ×4, first 2 shown]
	s_mov_b64 s[30:31], 0
.LBB10_656:                             ;   Parent Loop BB10_81 Depth=1
                                        ;     Parent Loop BB10_550 Depth=2
                                        ;       Parent Loop BB10_553 Depth=3
                                        ; =>      This Inner Loop Header: Depth=4
	v_add_co_u32_e32 v16, vcc, 0xfffffc40, v14
	v_addc_co_u32_e32 v17, vcc, -1, v15, vcc
	v_add_co_u32_e32 v44, vcc, 0xfffffc80, v14
	v_addc_co_u32_e32 v45, vcc, -1, v15, vcc
	v_add_co_u32_e32 v46, vcc, 0xfffffcc0, v14
	v_addc_co_u32_e32 v47, vcc, -1, v15, vcc
	flat_load_ubyte v16, v[16:17] glc slc
	v_sub_u32_e32 v1, v1, v50
	flat_load_ubyte v17, v[44:45] glc slc
	v_add_co_u32_e32 v44, vcc, 0xfffffd00, v14
	v_addc_co_u32_e32 v45, vcc, -1, v15, vcc
	flat_load_ubyte v52, v[46:47] glc slc
	v_add_co_u32_e32 v46, vcc, 0xfffffd40, v14
	v_addc_co_u32_e32 v47, vcc, -1, v15, vcc
	;; [unrolled: 3-line block ×4, first 2 shown]
	flat_load_ubyte v51, v[44:45] glc slc
	v_add_co_u32_e32 v44, vcc, 0xfffffe00, v14
	flat_load_ubyte v19, v[14:15] glc slc
	v_addc_co_u32_e32 v45, vcc, -1, v15, vcc
	flat_load_ubyte v53, v[46:47] glc slc
	v_add_co_u32_e32 v46, vcc, 0xfffffe40, v14
	v_addc_co_u32_e32 v47, vcc, -1, v15, vcc
	flat_load_ubyte v54, v[44:45] glc slc
	v_add_co_u32_e32 v44, vcc, 0xfffffe80, v14
	v_addc_co_u32_e32 v45, vcc, -1, v15, vcc
	flat_load_ubyte v42, v[46:47] glc slc
	v_add_co_u32_e32 v46, vcc, 0xfffffec0, v14
	v_addc_co_u32_e32 v47, vcc, -1, v15, vcc
	flat_load_ubyte v43, v[44:45] glc slc
	v_add_co_u32_e32 v44, vcc, 0xffffff00, v14
	v_addc_co_u32_e32 v45, vcc, -1, v15, vcc
	flat_load_ubyte v56, v[46:47] glc slc
	v_add_co_u32_e32 v46, vcc, 0xffffff40, v14
	v_addc_co_u32_e32 v47, vcc, -1, v15, vcc
	flat_load_ubyte v57, v[44:45] glc slc
	v_add_co_u32_e32 v44, vcc, 0xffffff80, v14
	v_addc_co_u32_e32 v45, vcc, -1, v15, vcc
	flat_load_ubyte v41, v[46:47] glc slc
	v_add_co_u32_e32 v46, vcc, s71, v14
	flat_load_ubyte v44, v[44:45] glc slc
	v_addc_co_u32_e32 v47, vcc, -1, v15, vcc
	flat_load_ubyte v45, v[46:47] glc slc
	v_cmp_gt_i32_e32 vcc, 1, v1
	s_or_b64 s[30:31], vcc, s[30:31]
	v_add_co_u32_e32 v14, vcc, v14, v11
	v_addc_co_u32_e32 v15, vcc, v15, v6, vcc
	s_waitcnt vmcnt(0) lgkmcnt(0)
	flat_store_byte v[2:3], v19 offset:960 glc slc
	flat_store_byte v[2:3], v16 glc slc
	flat_store_byte v[2:3], v17 offset:64 glc slc
	flat_store_byte v[2:3], v52 offset:128 glc slc
	flat_store_byte v[2:3], v0 offset:192 glc slc
	flat_store_byte v[2:3], v24 offset:256 glc slc
	flat_store_byte v[2:3], v51 offset:320 glc slc
	flat_store_byte v[2:3], v53 offset:384 glc slc
	flat_store_byte v[2:3], v54 offset:448 glc slc
	flat_store_byte v[2:3], v42 offset:512 glc slc
	flat_store_byte v[2:3], v43 offset:576 glc slc
	flat_store_byte v[2:3], v56 offset:640 glc slc
	flat_store_byte v[2:3], v57 offset:704 glc slc
	flat_store_byte v[2:3], v41 offset:768 glc slc
	flat_store_byte v[2:3], v44 offset:832 glc slc
	flat_store_byte v[2:3], v45 offset:896 glc slc
	flat_store_byte v[4:5], v16 glc slc
	flat_store_byte v[4:5], v17 offset:64 glc slc
	flat_store_byte v[4:5], v52 offset:128 glc slc
	;; [unrolled: 1-line block ×15, first 2 shown]
	v_add_co_u32_e32 v2, vcc, v2, v11
	v_addc_co_u32_e32 v3, vcc, v3, v6, vcc
	v_add_co_u32_e32 v4, vcc, v4, v11
	v_addc_co_u32_e32 v5, vcc, v5, v6, vcc
	s_andn2_b64 exec, exec, s[30:31]
	s_cbranch_execnz .LBB10_656
; %bb.657:                              ;   in Loop: Header=BB10_553 Depth=3
	s_or_b64 exec, exec, s[30:31]
	v_accvgpr_read_b32 v41, a4
	v_accvgpr_read_b32 v43, a21
	v_mov_b32_e32 v42, 1
	v_accvgpr_read_b32 v51, a24
	v_accvgpr_read_b32 v54, a26
	;; [unrolled: 1-line block ×4, first 2 shown]
.LBB10_658:                             ;   in Loop: Header=BB10_553 Depth=3
	s_or_b64 exec, exec, s[28:29]
	v_lshlrev_b32_e32 v2, 10, v18
	v_cmp_ne_u32_e32 vcc, v23, v2
	s_and_saveexec_b64 s[36:37], vcc
	s_cbranch_execz .LBB10_664
; %bb.659:                              ;   in Loop: Header=BB10_553 Depth=3
	v_add_u32_e32 v0, v48, v10
	v_and_b32_e32 v0, 0xffffffc0, v0
	v_sub_u32_e32 v0, v48, v0
	v_lshlrev_b32_e32 v1, 6, v1
	v_sub_u32_e32 v0, v0, v1
	v_add_u32_e32 v2, v2, v0
	v_sub_u32_e32 v1, v23, v2
	v_cmp_lt_i32_e32 vcc, 0, v1
	s_and_b64 exec, exec, vcc
	s_cbranch_execz .LBB10_664
; %bb.660:                              ;   in Loop: Header=BB10_553 Depth=3
	s_trap 2
	ds_read_b64 v[14:15], v0
	v_add_u32_e32 v0, v2, v22
	ds_read_b128 v[2:5], v0
	v_ashrrev_i32_e32 v10, 31, v0
	s_mov_b64 s[58:59], 0
	s_waitcnt lgkmcnt(0)
	v_add_co_u32_e32 v14, vcc, v14, v0
	v_addc_co_u32_e32 v15, vcc, v15, v10, vcc
	v_add_co_u32_e32 v2, vcc, v2, v0
	v_addc_co_u32_e32 v3, vcc, v3, v10, vcc
	;; [unrolled: 2-line block ×3, first 2 shown]
.LBB10_661:                             ;   Parent Loop BB10_81 Depth=1
                                        ;     Parent Loop BB10_550 Depth=2
                                        ;       Parent Loop BB10_553 Depth=3
                                        ; =>      This Loop Header: Depth=4
                                        ;           Child Loop BB10_662 Depth 5
	flat_load_ubyte v10, v[14:15] glc slc
	s_mov_b64 s[60:61], -1
	s_mov_b64 s[62:63], 0
	s_waitcnt vmcnt(0)
.LBB10_662:                             ;   Parent Loop BB10_81 Depth=1
                                        ;     Parent Loop BB10_550 Depth=2
                                        ;       Parent Loop BB10_553 Depth=3
                                        ;         Parent Loop BB10_661 Depth=4
                                        ; =>        This Inner Loop Header: Depth=5
	s_cmp_eq_u32 s62, 1
	s_cselect_b64 vcc, -1, 0
	v_cndmask_b32_e32 v16, v2, v4, vcc
	v_cndmask_b32_e32 v17, v3, v5, vcc
	v_add_co_u32_e64 v0, s[28:29], 64, v16
	s_cmp_eq_u32 s62, 0
	s_waitcnt lgkmcnt(0)
	flat_store_byte v[16:17], v10 glc slc
	v_addc_co_u32_e64 v16, s[28:29], 0, v17, s[28:29]
	s_cselect_b64 s[28:29], -1, 0
	s_and_b64 s[30:31], exec, s[60:61]
	s_mov_b64 s[62:63], 1
	s_mov_b64 s[60:61], 0
	v_cndmask_b32_e32 v5, v5, v16, vcc
	v_cndmask_b32_e32 v4, v4, v0, vcc
	v_cndmask_b32_e64 v3, v3, v16, s[28:29]
	v_cndmask_b32_e64 v2, v2, v0, s[28:29]
	s_mov_b64 vcc, s[30:31]
	s_cbranch_vccnz .LBB10_662
; %bb.663:                              ;   in Loop: Header=BB10_661 Depth=4
	v_add_co_u32_e32 v2, vcc, v2, v40
	v_addc_co_u32_e32 v3, vcc, v3, v55, vcc
	v_add_co_u32_e32 v4, vcc, v4, v40
	v_addc_co_u32_e32 v5, vcc, v5, v55, vcc
	v_sub_u32_e32 v1, v1, v25
	v_cmp_gt_i32_e32 vcc, 1, v1
	s_or_b64 s[58:59], vcc, s[58:59]
	v_add_co_u32_e32 v14, vcc, v8, v14
	v_addc_co_u32_e32 v15, vcc, v9, v15, vcc
	s_andn2_b64 exec, exec, s[58:59]
	s_cbranch_execnz .LBB10_661
.LBB10_664:                             ;   in Loop: Header=BB10_553 Depth=3
	s_or_b64 exec, exec, s[36:37]
	s_or_b64 exec, exec, s[34:35]
	s_branch .LBB10_626
.LBB10_665:                             ;   in Loop: Header=BB10_553 Depth=3
	s_mov_b64 s[28:29], -1
	s_and_saveexec_b64 s[30:31], s[22:23]
	s_cbranch_execz .LBB10_667
; %bb.666:                              ;   in Loop: Header=BB10_553 Depth=3
	ds_read_b32 v0, v0 offset:720
	s_waitcnt lgkmcnt(0)
	v_and_b32_e32 v0, 15, v0
	v_cmp_eq_u32_e32 vcc, 0, v0
	s_orn2_b64 s[28:29], vcc, exec
.LBB10_667:                             ;   in Loop: Header=BB10_553 Depth=3
	s_or_b64 exec, exec, s[30:31]
	s_and_saveexec_b64 s[30:31], s[18:19]
	s_cbranch_execz .LBB10_669
; %bb.668:                              ;   in Loop: Header=BB10_553 Depth=3
	ds_read_b32 v0, v0 offset:784
	s_waitcnt lgkmcnt(0)
	v_and_b32_e32 v0, 15, v0
	v_cmp_eq_u32_e32 vcc, 0, v0
	s_and_b64 vcc, s[28:29], vcc
	s_andn2_b64 s[28:29], s[28:29], exec
	s_and_b64 vcc, vcc, exec
	s_or_b64 s[28:29], s[28:29], vcc
.LBB10_669:                             ;   in Loop: Header=BB10_553 Depth=3
	s_or_b64 exec, exec, s[30:31]
	s_xor_b64 s[28:29], s[28:29], -1
	v_cndmask_b32_e64 v0, 0, 1, s[28:29]
	s_mov_b64 s[34:35], -1
	;;#ASMSTART
	;;#ASMEND
	v_cmp_ne_u32_e32 vcc, 0, v0
	v_mov_b32_e32 v1, 0
	v_mov_b32_e32 v10, v59
	;; [unrolled: 1-line block ×4, first 2 shown]
	s_cbranch_vccz .LBB10_676
; %bb.670:                              ;   in Loop: Header=BB10_553 Depth=3
	s_and_saveexec_b64 s[28:29], s[34:35]
	s_cbranch_execnz .LBB10_689
.LBB10_671:                             ;   in Loop: Header=BB10_553 Depth=3
	s_or_b64 exec, exec, s[28:29]
	s_and_saveexec_b64 s[28:29], s[10:11]
	s_cbranch_execnz .LBB10_627
.LBB10_672:                             ;   in Loop: Header=BB10_553 Depth=3
	s_or_b64 exec, exec, s[28:29]
                                        ; implicit-def: $vgpr1
	s_and_saveexec_b64 s[28:29], s[24:25]
	s_xor_b64 s[30:31], exec, s[28:29]
	s_cbranch_execz .LBB10_705
.LBB10_673:                             ;   in Loop: Header=BB10_553 Depth=3
	v_and_b32_e32 v0, 16, v62
	v_cmp_lt_i32_e32 vcc, 0, v59
	v_cmp_ne_u32_e64 s[28:29], 0, v0
	v_and_b32_e32 v1, 16, v62
	s_and_b64 vcc, s[28:29], vcc
	s_and_saveexec_b64 s[28:29], vcc
	s_cbranch_execz .LBB10_675
; %bb.674:                              ;   in Loop: Header=BB10_553 Depth=3
	v_mov_b32_e32 v1, 1
	s_waitcnt vmcnt(0) lgkmcnt(0)
	buffer_wbinvl1_vol
.LBB10_675:                             ;   in Loop: Header=BB10_553 Depth=3
	s_or_b64 exec, exec, s[28:29]
	s_andn2_saveexec_b64 s[28:29], s[30:31]
	s_cbranch_execz .LBB10_724
	s_branch .LBB10_706
.LBB10_676:                             ;   in Loop: Header=BB10_553 Depth=3
	v_ashrrev_i32_e32 v0, 31, v59
	v_lshrrev_b32_e32 v0, 21, v0
	v_add_u32_e32 v0, v59, v0
	v_ashrrev_i32_e32 v1, 11, v0
	v_sub_u32_e32 v15, v1, v53
	v_cmp_lt_i32_e32 vcc, 0, v15
	s_and_saveexec_b64 s[28:29], vcc
	s_cbranch_execz .LBB10_680
; %bb.677:                              ;   in Loop: Header=BB10_553 Depth=3
	s_trap 2
	ds_read_b64 v[2:3], v0
	v_accvgpr_read_b32 v4, a32
	s_mov_b64 s[30:31], 0
	v_accvgpr_read_b32 v5, a33
.LBB10_678:                             ;   Parent Loop BB10_81 Depth=1
                                        ;     Parent Loop BB10_550 Depth=2
                                        ;       Parent Loop BB10_553 Depth=3
                                        ; =>      This Inner Loop Header: Depth=4
	s_waitcnt lgkmcnt(0)
	v_add_co_u32_e32 v22, vcc, v2, v4
	v_addc_co_u32_e32 v23, vcc, v3, v5, vcc
	global_load_dwordx4 v[16:19], v[22:23], off glc slc
	global_load_dwordx4 v[44:47], v[22:23], off offset:1024 glc slc
	v_add_co_u32_e32 v4, vcc, v4, v20
	v_sub_u32_e32 v15, v15, v50
	v_addc_co_u32_e32 v5, vcc, v5, v21, vcc
	v_cmp_gt_i32_e32 vcc, 1, v15
	s_or_b64 s[30:31], vcc, s[30:31]
	s_waitcnt vmcnt(0)
	global_store_dwordx4 v[22:23], v[16:19], off glc slc
	global_store_dwordx4 v[22:23], v[44:47], off offset:1024 glc slc
	s_andn2_b64 exec, exec, s[30:31]
	s_cbranch_execnz .LBB10_678
; %bb.679:                              ;   in Loop: Header=BB10_553 Depth=3
	s_or_b64 exec, exec, s[30:31]
.LBB10_680:                             ;   in Loop: Header=BB10_553 Depth=3
	s_or_b64 exec, exec, s[28:29]
	v_lshlrev_b32_e32 v14, 11, v1
	v_cmp_ne_u32_e32 vcc, v59, v14
	s_mov_b64 s[34:35], 0
	v_mov_b32_e32 v1, 0
                                        ; implicit-def: $vgpr10
                                        ; implicit-def: $vgpr16
                                        ; implicit-def: $vgpr4
	s_and_saveexec_b64 s[30:31], vcc
	s_cbranch_execz .LBB10_688
; %bb.681:                              ;   in Loop: Header=BB10_553 Depth=3
	v_lshlrev_b32_e32 v1, 6, v15
	v_accvgpr_read_b32 v2, a28
	v_sub_u32_e32 v1, v2, v1
	v_ashrrev_i32_e32 v2, 31, v1
	v_lshrrev_b32_e32 v2, 26, v2
	v_add_u32_e32 v2, v1, v2
	v_sub_u32_e32 v0, v59, v14
	v_ashrrev_i32_e32 v3, 6, v2
	v_and_b32_e32 v2, 0xffffffc0, v2
	v_sub_u32_e32 v15, v1, v2
	v_ashrrev_i32_e32 v2, 31, v0
	v_lshrrev_b32_e32 v2, 22, v2
	v_add_u32_e32 v2, v0, v2
	v_and_b32_e32 v17, 0xfffffc00, v2
	v_lshlrev_b32_e32 v1, 4, v15
	v_sub_u32_e32 v19, v0, v17
	v_lshl_add_u32 v4, v3, 10, v1
	v_ashrrev_i32_e32 v5, 10, v2
	v_cmp_lt_i32_e32 vcc, 15, v19
	v_sub_u32_e32 v1, v0, v4
	v_addc_co_u32_e64 v0, s[28:29], 0, v5, vcc
	v_sub_u32_e32 v18, v0, v3
	v_cmp_lt_i32_e64 s[28:29], 15, v1
	s_and_saveexec_b64 s[34:35], s[28:29]
	s_cbranch_execz .LBB10_685
; %bb.682:                              ;   in Loop: Header=BB10_553 Depth=3
	s_trap 2
	ds_read_b64 v[2:3], v0
	v_add_u32_e32 v4, v4, v14
	v_ashrrev_i32_e32 v5, 31, v4
	s_mov_b64 s[36:37], 0
.LBB10_683:                             ;   Parent Loop BB10_81 Depth=1
                                        ;     Parent Loop BB10_550 Depth=2
                                        ;       Parent Loop BB10_553 Depth=3
                                        ; =>      This Inner Loop Header: Depth=4
	s_waitcnt lgkmcnt(0)
	v_add_co_u32_e64 v22, s[28:29], v2, v4
	v_addc_co_u32_e64 v23, s[28:29], v3, v5, s[28:29]
	global_load_dwordx4 v[44:47], v[22:23], off glc slc
	v_add_co_u32_e64 v4, s[28:29], v4, v11
	v_sub_u32_e32 v1, v1, v51
	v_addc_co_u32_e64 v5, s[28:29], v5, v6, s[28:29]
	v_cmp_gt_i32_e64 s[28:29], 16, v1
	v_sub_u32_e32 v18, v18, v50
	s_or_b64 s[36:37], s[28:29], s[36:37]
	s_waitcnt vmcnt(0)
	global_store_dwordx4 v[22:23], v[44:47], off glc slc
	s_andn2_b64 exec, exec, s[36:37]
	s_cbranch_execnz .LBB10_683
; %bb.684:                              ;   in Loop: Header=BB10_553 Depth=3
	s_or_b64 exec, exec, s[36:37]
.LBB10_685:                             ;   in Loop: Header=BB10_553 Depth=3
	s_or_b64 exec, exec, s[34:35]
	v_and_b32_e32 v2, 15, v59
	v_cndmask_b32_e32 v10, v19, v2, vcc
	v_cmp_ne_u32_e64 s[28:29], 0, v10
	s_mov_b64 s[34:35], 0
	v_mov_b32_e32 v1, 0
                                        ; implicit-def: $vgpr16
                                        ; implicit-def: $vgpr4
	s_and_saveexec_b64 s[36:37], s[28:29]
	s_cbranch_execz .LBB10_687
; %bb.686:                              ;   in Loop: Header=BB10_553 Depth=3
	v_sub_u32_e32 v0, v19, v2
	v_cndmask_b32_e32 v0, 0, v0, vcc
	v_cmp_lt_i32_e32 vcc, 0, v18
	v_add3_u32 v1, v17, v14, v0
	v_cndmask_b32_e32 v0, 0, v50, vcc
	v_sub_u32_e32 v0, v0, v18
	v_lshl_add_u32 v16, v0, 6, v15
	v_ashrrev_i32_e32 v0, 31, v16
	v_lshrrev_b32_e32 v0, 26, v0
	v_add_u32_e32 v0, v16, v0
	s_mov_b64 s[34:35], exec
	v_ashrrev_i32_e32 v4, 6, v0
.LBB10_687:                             ;   in Loop: Header=BB10_553 Depth=3
	s_or_b64 exec, exec, s[36:37]
	s_and_b64 s[34:35], s[34:35], exec
.LBB10_688:                             ;   in Loop: Header=BB10_553 Depth=3
	s_or_b64 exec, exec, s[30:31]
	s_and_saveexec_b64 s[28:29], s[34:35]
	s_cbranch_execz .LBB10_671
.LBB10_689:                             ;   in Loop: Header=BB10_553 Depth=3
	v_ashrrev_i32_e32 v0, 31, v10
	v_lshrrev_b32_e32 v0, 22, v0
	v_add_u32_e32 v0, v10, v0
	v_ashrrev_i32_e32 v18, 10, v0
	v_sub_u32_e32 v17, v18, v4
	v_cmp_lt_i32_e32 vcc, 0, v17
	s_and_saveexec_b64 s[30:31], vcc
	s_cbranch_execz .LBB10_693
; %bb.690:                              ;   in Loop: Header=BB10_553 Depth=3
	s_trap 2
	ds_read_b64 v[2:3], v0
	v_ashrrev_i32_e32 v0, 31, v16
	v_lshrrev_b32_e32 v0, 26, v0
	v_add_u32_e32 v0, v16, v0
	v_and_b32_e32 v0, 0xffffffc0, v0
	v_sub_u32_e32 v0, v16, v0
	v_lshlrev_b32_e32 v4, 10, v4
	v_add3_u32 v4, v1, v0, v4
	v_ashrrev_i32_e32 v5, 31, v4
	s_mov_b64 s[34:35], 0
	s_waitcnt lgkmcnt(0)
	v_pk_mov_b32 v[14:15], v[2:3], v[2:3] op_sel:[0,1]
.LBB10_691:                             ;   Parent Loop BB10_81 Depth=1
                                        ;     Parent Loop BB10_550 Depth=2
                                        ;       Parent Loop BB10_553 Depth=3
                                        ; =>      This Inner Loop Header: Depth=4
	v_add_co_u32_e32 v22, vcc, v4, v14
	v_addc_co_u32_e32 v23, vcc, v5, v15, vcc
	flat_load_ubyte v0, v[22:23] glc slc
	flat_load_ubyte v19, v[22:23] offset:64 glc slc
	flat_load_ubyte v24, v[22:23] offset:128 glc slc
	;; [unrolled: 1-line block ×15, first 2 shown]
	v_add_co_u32_e32 v22, vcc, v4, v2
	v_addc_co_u32_e32 v23, vcc, v5, v3, vcc
	v_add_co_u32_e32 v14, vcc, v14, v11
	v_addc_co_u32_e32 v15, vcc, v15, v6, vcc
	v_add_co_u32_e32 v2, vcc, v2, v11
	v_sub_u32_e32 v17, v17, v50
	v_addc_co_u32_e32 v3, vcc, v3, v6, vcc
	v_cmp_gt_i32_e32 vcc, 1, v17
	s_or_b64 s[34:35], vcc, s[34:35]
	s_waitcnt vmcnt(0) lgkmcnt(0)
	flat_store_byte v[22:23], v0 glc slc
	flat_store_byte v[22:23], v19 offset:64 glc slc
	flat_store_byte v[22:23], v24 offset:128 glc slc
	;; [unrolled: 1-line block ×15, first 2 shown]
	s_andn2_b64 exec, exec, s[34:35]
	s_cbranch_execnz .LBB10_691
; %bb.692:                              ;   in Loop: Header=BB10_553 Depth=3
	s_or_b64 exec, exec, s[34:35]
	v_accvgpr_read_b32 v43, a21
	v_mov_b32_e32 v42, 1
	v_accvgpr_read_b32 v51, a24
	v_accvgpr_read_b32 v54, a26
	;; [unrolled: 1-line block ×4, first 2 shown]
.LBB10_693:                             ;   in Loop: Header=BB10_553 Depth=3
	s_or_b64 exec, exec, s[30:31]
	v_lshlrev_b32_e32 v2, 10, v18
	v_cmp_ne_u32_e32 vcc, v10, v2
	s_and_saveexec_b64 s[30:31], vcc
	s_cbranch_execz .LBB10_697
; %bb.694:                              ;   in Loop: Header=BB10_553 Depth=3
	v_ashrrev_i32_e32 v0, 31, v16
	v_lshrrev_b32_e32 v0, 26, v0
	v_add_u32_e32 v0, v16, v0
	v_and_b32_e32 v0, 0xffffffc0, v0
	v_sub_u32_e32 v0, v16, v0
	v_lshlrev_b32_e32 v3, 6, v17
	v_sub_u32_e32 v0, v0, v3
	v_add_u32_e32 v4, v2, v0
	v_sub_u32_e32 v10, v10, v4
	v_cmp_lt_i32_e32 vcc, 0, v10
	s_and_b64 exec, exec, vcc
	s_cbranch_execz .LBB10_697
; %bb.695:                              ;   in Loop: Header=BB10_553 Depth=3
	s_trap 2
	ds_read_b64 v[2:3], v0
	v_add_u32_e32 v4, v4, v1
	v_ashrrev_i32_e32 v5, 31, v4
	s_mov_b64 s[34:35], 0
.LBB10_696:                             ;   Parent Loop BB10_81 Depth=1
                                        ;     Parent Loop BB10_550 Depth=2
                                        ;       Parent Loop BB10_553 Depth=3
                                        ; =>      This Inner Loop Header: Depth=4
	s_waitcnt lgkmcnt(0)
	v_add_co_u32_e32 v14, vcc, v2, v4
	v_addc_co_u32_e32 v15, vcc, v3, v5, vcc
	flat_load_ubyte v0, v[14:15] glc slc
	v_add_co_u32_e32 v4, vcc, v4, v8
	v_sub_u32_e32 v10, v10, v25
	v_addc_co_u32_e32 v5, vcc, v5, v9, vcc
	v_cmp_gt_i32_e32 vcc, 1, v10
	s_or_b64 s[34:35], vcc, s[34:35]
	s_waitcnt vmcnt(0) lgkmcnt(0)
	flat_store_byte v[14:15], v0 glc slc
	s_andn2_b64 exec, exec, s[34:35]
	s_cbranch_execnz .LBB10_696
.LBB10_697:                             ;   in Loop: Header=BB10_553 Depth=3
	s_or_b64 exec, exec, s[30:31]
	s_or_b64 exec, exec, s[28:29]
	s_and_saveexec_b64 s[28:29], s[10:11]
	s_cbranch_execnz .LBB10_627
	s_branch .LBB10_672
.LBB10_698:                             ;   in Loop: Header=BB10_553 Depth=3
	s_or_b64 exec, exec, s[58:59]
	s_and_saveexec_b64 vcc, s[60:61]
	s_xor_b64 vcc, exec, vcc
	s_cbranch_execz .LBB10_700
; %bb.699:                              ;   in Loop: Header=BB10_553 Depth=3
	ds_write_b32 v0, v42
	s_trap 2
.LBB10_700:                             ;   in Loop: Header=BB10_553 Depth=3
	s_or_b64 exec, exec, s[36:37]
	;;#ASMSTART
	s_wakeup
	;;#ASMEND
.LBB10_701:                             ;   in Loop: Header=BB10_553 Depth=3
	s_or_b64 exec, exec, s[34:35]
.LBB10_702:                             ;   in Loop: Header=BB10_553 Depth=3
	s_andn2_saveexec_b64 vcc, s[30:31]
	s_cbranch_execz .LBB10_704
; %bb.703:                              ;   in Loop: Header=BB10_553 Depth=3
	s_waitcnt vmcnt(0) lgkmcnt(0)
	buffer_wbinvl1_vol
	s_barrier
.LBB10_704:                             ;   in Loop: Header=BB10_553 Depth=3
	s_or_b64 exec, exec, vcc
	s_or_b64 exec, exec, s[28:29]
                                        ; implicit-def: $vgpr1
	s_and_saveexec_b64 s[28:29], s[24:25]
	s_xor_b64 s[30:31], exec, s[28:29]
	s_cbranch_execnz .LBB10_673
.LBB10_705:                             ;   in Loop: Header=BB10_553 Depth=3
	s_andn2_saveexec_b64 s[28:29], s[30:31]
	s_cbranch_execz .LBB10_724
.LBB10_706:                             ;   in Loop: Header=BB10_553 Depth=3
	s_and_saveexec_b64 vcc, s[46:47]
	s_xor_b64 s[30:31], exec, vcc
	s_cbranch_execz .LBB10_721
; %bb.707:                              ;   in Loop: Header=BB10_553 Depth=3
	s_and_saveexec_b64 s[34:35], s[16:17]
	s_cbranch_execz .LBB10_720
; %bb.708:                              ;   in Loop: Header=BB10_553 Depth=3
	s_mov_b64 s[58:59], exec
	v_mbcnt_lo_u32_b32 v0, s58, 0
	v_mbcnt_hi_u32_b32 v0, s59, v0
	v_cmp_eq_u32_e32 vcc, 0, v0
	;;#ASMSTART
	s_waitcnt lgkmcnt(0) vmcnt(0)
	;;#ASMEND
	s_and_saveexec_b64 s[36:37], vcc
	s_cbranch_execz .LBB10_710
; %bb.709:                              ;   in Loop: Header=BB10_553 Depth=3
	s_bcnt1_i32_b64 vcc_lo, s[58:59]
	v_mov_b32_e32 v48, vcc_lo
	ds_add_u64 v0, v[48:49]
	s_trap 2
.LBB10_710:                             ;   in Loop: Header=BB10_553 Depth=3
	s_or_b64 exec, exec, s[36:37]
	s_trap 2
	ds_read_b64 v[2:3], v0
	v_add_co_u32_e32 v34, vcc, v34, v50
	v_addc_co_u32_e32 v35, vcc, 0, v35, vcc
	s_waitcnt lgkmcnt(0)
	v_cmp_lt_u64_e32 vcc, v[2:3], v[34:35]
	s_and_saveexec_b64 s[36:37], vcc
	s_cbranch_execz .LBB10_719
; %bb.711:                              ;   in Loop: Header=BB10_553 Depth=3
	s_mov_b32 s76, 0
	s_mov_b64 s[58:59], 0
                                        ; implicit-def: $sgpr60_sgpr61
                                        ; implicit-def: $sgpr62_sgpr63
	s_branch .LBB10_713
.LBB10_712:                             ;   in Loop: Header=BB10_713 Depth=4
	s_or_b64 exec, exec, s[66:67]
	s_and_b64 vcc, exec, vcc
	s_or_b64 s[58:59], vcc, s[58:59]
	s_andn2_b64 vcc, s[60:61], exec
	s_and_b64 s[60:61], s[62:63], exec
	s_or_b64 s[60:61], vcc, s[60:61]
	s_andn2_b64 exec, exec, s[58:59]
	s_cbranch_execz .LBB10_717
.LBB10_713:                             ;   Parent Loop BB10_81 Depth=1
                                        ;     Parent Loop BB10_550 Depth=2
                                        ;       Parent Loop BB10_553 Depth=3
                                        ; =>      This Inner Loop Header: Depth=4
	s_add_i32 s76, s76, 1
	s_cmpk_lg_i32 s76, 0x2710
	s_cselect_b64 s[64:65], -1, 0
	s_and_b64 vcc, exec, s[64:65]
                                        ; implicit-def: $sgpr66_sgpr67
	s_cbranch_vccnz .LBB10_715
; %bb.714:                              ;   in Loop: Header=BB10_713 Depth=4
	s_trap 2
	ds_read_b64 v[2:3], v0
	s_andn2_b64 s[64:65], s[64:65], exec
	s_mov_b32 s76, 0
	s_mov_b64 s[66:67], -1
	s_waitcnt vmcnt(0) lgkmcnt(0)
	flat_load_dword v0, v[2:3] glc
	s_waitcnt vmcnt(0) lgkmcnt(0)
	buffer_invl2
	buffer_wbinvl1_vol
	v_cmp_eq_u32_e32 vcc, 0, v0
	s_and_b64 vcc, vcc, exec
	s_or_b64 s[64:65], s[64:65], vcc
.LBB10_715:                             ;   in Loop: Header=BB10_713 Depth=4
	s_andn2_b64 s[62:63], s[62:63], exec
	s_and_b64 s[66:67], s[66:67], exec
	s_mov_b64 vcc, -1
	s_or_b64 s[62:63], s[62:63], s[66:67]
	s_and_saveexec_b64 s[66:67], s[64:65]
	s_cbranch_execz .LBB10_712
; %bb.716:                              ;   in Loop: Header=BB10_713 Depth=4
	s_sleep 1
	s_trap 2
	ds_read_b64 v[2:3], v0
	s_andn2_b64 s[62:63], s[62:63], exec
	s_waitcnt lgkmcnt(0)
	v_cmp_ge_u64_e32 vcc, v[2:3], v[34:35]
	s_orn2_b64 vcc, vcc, exec
	s_branch .LBB10_712
.LBB10_717:                             ;   in Loop: Header=BB10_553 Depth=3
	s_or_b64 exec, exec, s[58:59]
	s_and_saveexec_b64 vcc, s[60:61]
	s_xor_b64 vcc, exec, vcc
	s_cbranch_execz .LBB10_719
; %bb.718:                              ;   in Loop: Header=BB10_553 Depth=3
	ds_write_b32 v0, v42
	s_trap 2
.LBB10_719:                             ;   in Loop: Header=BB10_553 Depth=3
	s_or_b64 exec, exec, s[36:37]
	;;#ASMSTART
	s_wakeup
	;;#ASMEND
.LBB10_720:                             ;   in Loop: Header=BB10_553 Depth=3
	s_or_b64 exec, exec, s[34:35]
.LBB10_721:                             ;   in Loop: Header=BB10_553 Depth=3
	s_andn2_saveexec_b64 vcc, s[30:31]
	s_cbranch_execz .LBB10_723
; %bb.722:                              ;   in Loop: Header=BB10_553 Depth=3
	;;#ASMSTART
	s_waitcnt lgkmcnt(0) vmcnt(0)
	;;#ASMEND
	s_barrier
.LBB10_723:                             ;   in Loop: Header=BB10_553 Depth=3
	s_or_b64 exec, exec, vcc
	v_and_b32_e32 v1, 16, v62
.LBB10_724:                             ;   in Loop: Header=BB10_553 Depth=3
	s_or_b64 exec, exec, s[28:29]
	v_cmp_ne_u32_e32 vcc, 0, v1
	s_xor_b64 s[28:29], s[12:13], -1
	s_and_b64 vcc, vcc, s[28:29]
	s_and_saveexec_b64 s[28:29], vcc
	s_cbranch_execz .LBB10_726
; %bb.725:                              ;   in Loop: Header=BB10_553 Depth=3
	flat_store_dword v[36:37], v42
.LBB10_726:                             ;   in Loop: Header=BB10_553 Depth=3
	s_or_b64 exec, exec, s[28:29]
	v_and_b32_e32 v0, 48, v62
	v_cmp_ne_u32_e32 vcc, 0, v0
	s_and_saveexec_b64 s[28:29], vcc
	s_cbranch_execz .LBB10_552
; %bb.727:                              ;   in Loop: Header=BB10_553 Depth=3
	v_add_co_u32_e32 v26, vcc, 2, v26
	v_addc_co_u32_e32 v27, vcc, 0, v27, vcc
	flat_store_dwordx2 v[28:29], v[26:27]
	s_branch .LBB10_552
.LBB10_728:                             ;   in Loop: Header=BB10_550 Depth=2
	s_or_b64 exec, exec, s[52:53]
	v_cmp_gt_i32_e32 vcc, 2, v1
	s_and_saveexec_b64 s[30:31], vcc
	s_cbranch_execz .LBB10_802
.LBB10_729:                             ;   in Loop: Header=BB10_550 Depth=2
	v_cmp_eq_u32_e64 s[28:29], 0, v1
	s_mov_b64 s[34:35], 0
	s_branch .LBB10_731
.LBB10_730:                             ;   in Loop: Header=BB10_731 Depth=3
	s_or_b64 exec, exec, s[28:29]
	v_add_u32_e32 v31, v58, v31
	s_mov_b64 s[28:29], 0
	s_andn2_b64 exec, exec, s[34:35]
	s_cbranch_execz .LBB10_803
.LBB10_731:                             ;   Parent Loop BB10_81 Depth=1
                                        ;     Parent Loop BB10_550 Depth=2
                                        ; =>    This Loop Header: Depth=3
                                        ;         Child Loop BB10_737 Depth 4
                                        ;         Child Loop BB10_775 Depth 4
	;; [unrolled: 1-line block ×3, first 2 shown]
	v_and_b32_e32 v0, 12, v62
	s_mov_b64 s[52:53], -1
	v_cmp_ne_u32_e32 vcc, 0, v0
	s_and_saveexec_b64 s[36:37], vcc
	s_cbranch_execz .LBB10_743
; %bb.732:                              ;   in Loop: Header=BB10_731 Depth=3
	v_and_b32_e32 v2, 8, v62
	v_add_co_u32_e32 v14, vcc, v38, v2
	v_addc_co_u32_e32 v15, vcc, 0, v39, vcc
	v_add_co_u32_e32 v4, vcc, 2, v26
	v_addc_co_u32_e32 v5, vcc, 0, v27, vcc
	v_cmp_lt_u64_e32 vcc, v[14:15], v[4:5]
	v_mov_b32_e32 v1, 1
	s_and_saveexec_b64 s[52:53], vcc
	s_cbranch_execz .LBB10_742
; %bb.733:                              ;   in Loop: Header=BB10_731 Depth=3
	s_mov_b64 s[54:55], 0
	v_mov_b32_e32 v1, 0
                                        ; implicit-def: $sgpr56_sgpr57
	s_branch .LBB10_737
.LBB10_734:                             ;   in Loop: Header=BB10_737 Depth=4
	s_or_b64 exec, exec, s[64:65]
	v_mov_b32_e32 v3, 0
	s_orn2_b64 s[62:63], s[62:63], exec
.LBB10_735:                             ;   in Loop: Header=BB10_737 Depth=4
	s_or_b64 exec, exec, s[60:61]
	s_andn2_b64 vcc, s[56:57], exec
	s_and_b64 s[56:57], s[62:63], exec
	s_or_b64 s[56:57], vcc, s[56:57]
	v_mov_b32_e32 v1, v3
.LBB10_736:                             ;   in Loop: Header=BB10_737 Depth=4
	s_or_b64 exec, exec, s[58:59]
	s_waitcnt vmcnt(0) lgkmcnt(0)
	v_add_co_u32_e32 v14, vcc, v38, v2
	v_addc_co_u32_e32 v15, vcc, 0, v39, vcc
	v_cmp_ge_u64_e32 vcc, v[14:15], v[4:5]
	s_xor_b64 s[58:59], s[56:57], -1
	s_or_b64 vcc, s[58:59], vcc
	s_and_b64 vcc, exec, vcc
	s_or_b64 s[54:55], vcc, s[54:55]
	s_andn2_b64 exec, exec, s[54:55]
	s_cbranch_execz .LBB10_741
.LBB10_737:                             ;   Parent Loop BB10_81 Depth=1
                                        ;     Parent Loop BB10_550 Depth=2
                                        ;       Parent Loop BB10_731 Depth=3
                                        ; =>      This Inner Loop Header: Depth=4
	s_sleep 1
	flat_load_dwordx2 v[38:39], v[28:29] glc
	v_and_b32_e32 v0, 64, v62
	v_cmp_eq_u32_e32 vcc, 0, v0
	s_andn2_b64 s[56:57], s[56:57], exec
	s_and_saveexec_b64 s[58:59], vcc
	s_cbranch_execz .LBB10_736
; %bb.738:                              ;   in Loop: Header=BB10_737 Depth=4
	v_add_u32_e32 v3, 1, v1
	v_cmp_lt_i32_e32 vcc, s72, v1
	s_mov_b64 s[62:63], -1
	s_and_saveexec_b64 s[60:61], vcc
	s_cbranch_execz .LBB10_735
; %bb.739:                              ;   in Loop: Header=BB10_737 Depth=4
	s_trap 2
	ds_read_b64 v[14:15], v0
	s_waitcnt vmcnt(0) lgkmcnt(0)
	flat_load_dword v1, v[14:15] glc
	s_waitcnt vmcnt(0) lgkmcnt(0)
	buffer_invl2
	buffer_wbinvl1_vol
	v_cmp_ne_u32_e32 vcc, 0, v1
	s_and_saveexec_b64 s[64:65], vcc
	s_cbranch_execz .LBB10_734
; %bb.740:                              ;   in Loop: Header=BB10_737 Depth=4
	v_or_b32_e32 v62, 64, v62
	s_xor_b64 s[62:63], exec, -1
	ds_write_b32 v0, v1
	s_trap 2
	s_branch .LBB10_734
.LBB10_741:                             ;   in Loop: Header=BB10_731 Depth=3
	s_or_b64 exec, exec, s[54:55]
	v_and_b32_e32 v1, 12, v62
.LBB10_742:                             ;   in Loop: Header=BB10_731 Depth=3
	s_or_b64 exec, exec, s[52:53]
	v_cmp_eq_u32_e32 vcc, 0, v1
	s_orn2_b64 s[52:53], vcc, exec
	;;#ASMSTART
	s_wakeup
	;;#ASMEND
.LBB10_743:                             ;   in Loop: Header=BB10_731 Depth=3
	s_or_b64 exec, exec, s[36:37]
	s_xor_b64 s[28:29], s[28:29], -1
	s_and_b64 s[28:29], exec, s[28:29]
	s_or_b64 s[34:35], s[28:29], s[34:35]
	v_sub_u32_e32 v0, v7, v31
	s_xor_b64 s[28:29], s[52:53], -1
	v_min_i32_e32 v58, v58, v0
	s_and_saveexec_b64 s[36:37], s[28:29]
	s_cbranch_execz .LBB10_767
; %bb.744:                              ;   in Loop: Header=BB10_731 Depth=3
	v_and_b32_e32 v0, 0x108, v62
	v_cmp_ne_u32_e32 vcc, s73, v0
	v_and_b32_e32 v2, 7, v26
	s_and_saveexec_b64 s[28:29], vcc
	s_xor_b64 s[28:29], exec, s[28:29]
	s_andn2_saveexec_b64 s[28:29], s[28:29]
	s_cbranch_execz .LBB10_746
; %bb.745:                              ;   in Loop: Header=BB10_731 Depth=3
	v_mad_u64_u32 v[4:5], vcc, v2, 24, v[12:13]
	v_ashrrev_i32_e32 v59, 31, v58
	flat_store_dwordx2 v[4:5], v[58:59] offset:8
.LBB10_746:                             ;   in Loop: Header=BB10_731 Depth=3
	s_or_b64 exec, exec, s[28:29]
	v_and_b32_e32 v0, 0x100, v62
	v_cmp_ne_u32_e32 vcc, 0, v0
	s_mov_b64 s[28:29], -1
                                        ; implicit-def: $vgpr4_vgpr5
	s_and_saveexec_b64 s[52:53], vcc
	s_cbranch_execz .LBB10_750
; %bb.747:                              ;   in Loop: Header=BB10_731 Depth=3
	v_mad_u64_u32 v[14:15], s[28:29], v2, 24, v[12:13]
	v_mov_b32_e32 v4, v15
	v_mad_u64_u32 v[4:5], s[28:29], v49, 24, v[4:5]
	v_mov_b32_e32 v15, v4
	flat_load_dword v0, v[14:15]
                                        ; implicit-def: $vgpr4_vgpr5
	s_waitcnt vmcnt(0) lgkmcnt(0)
	v_cmp_ne_u32_e32 vcc, 1, v0
	v_cmp_eq_u32_e64 s[28:29], 1, v0
	s_and_saveexec_b64 s[54:55], s[28:29]
	s_cbranch_execz .LBB10_749
; %bb.748:                              ;   in Loop: Header=BB10_731 Depth=3
	flat_load_dword v4, v[14:15] offset:4 glc
	s_waitcnt vmcnt(0) lgkmcnt(0)
	v_ashrrev_i32_e32 v5, 31, v4
.LBB10_749:                             ;   in Loop: Header=BB10_731 Depth=3
	s_or_b64 exec, exec, s[54:55]
	s_orn2_b64 s[28:29], vcc, exec
.LBB10_750:                             ;   in Loop: Header=BB10_731 Depth=3
	s_or_b64 exec, exec, s[52:53]
	s_and_saveexec_b64 vcc, s[28:29]
; %bb.751:                              ;   in Loop: Header=BB10_731 Depth=3
	v_mul_lo_u32 v0, v49, v30
	v_mul_lo_u32 v1, v2, v43
	v_mad_u64_u32 v[4:5], s[28:29], v2, v30, 0
	v_add3_u32 v5, v5, v1, v0
; %bb.752:                              ;   in Loop: Header=BB10_731 Depth=3
	s_or_b64 exec, exec, vcc
	v_add_co_u32_e32 v2, vcc, v32, v4
	v_addc_co_u32_e32 v3, vcc, v33, v5, vcc
	s_trap 2
	ds_write_b64 v0, v[2:3]
	v_and_b32_e32 v0, 0x2000, v62
	v_cmp_ne_u32_e32 vcc, 0, v0
	s_and_saveexec_b64 s[28:29], vcc
	s_cbranch_execz .LBB10_754
; %bb.753:                              ;   in Loop: Header=BB10_731 Depth=3
	ds_read_b64 v[2:3], v0 offset:584
	s_waitcnt lgkmcnt(0)
	v_add_co_u32_e32 v2, vcc, 1, v2
	v_addc_co_u32_e32 v3, vcc, 0, v3, vcc
	ds_write_b64 v0, v[2:3] offset:584
.LBB10_754:                             ;   in Loop: Header=BB10_731 Depth=3
	s_or_b64 exec, exec, s[28:29]
	v_add_co_u32_e32 v26, vcc, 2, v26
	v_addc_co_u32_e32 v27, vcc, 0, v27, vcc
	s_or_b64 exec, exec, s[36:37]
	s_and_saveexec_b64 s[28:29], s[10:11]
	s_cbranch_execnz .LBB10_768
.LBB10_755:                             ;   in Loop: Header=BB10_731 Depth=3
	s_or_b64 exec, exec, s[28:29]
                                        ; implicit-def: $vgpr1
	s_and_saveexec_b64 s[28:29], s[50:51]
	s_xor_b64 s[28:29], exec, s[28:29]
	s_cbranch_execz .LBB10_793
.LBB10_756:                             ;   in Loop: Header=BB10_731 Depth=3
	s_and_saveexec_b64 vcc, s[46:47]
	s_xor_b64 s[36:37], exec, vcc
	s_cbranch_execz .LBB10_783
; %bb.757:                              ;   in Loop: Header=BB10_731 Depth=3
	s_and_saveexec_b64 s[52:53], s[16:17]
	s_cbranch_execz .LBB10_782
; %bb.758:                              ;   in Loop: Header=BB10_731 Depth=3
	s_mov_b64 s[56:57], exec
	v_mbcnt_lo_u32_b32 v0, s56, 0
	v_mbcnt_hi_u32_b32 v0, s57, v0
	v_cmp_eq_u32_e32 vcc, 0, v0
	;;#ASMSTART
	s_waitcnt lgkmcnt(0) vmcnt(0)
	;;#ASMEND
	s_and_saveexec_b64 s[54:55], vcc
	s_cbranch_execz .LBB10_760
; %bb.759:                              ;   in Loop: Header=BB10_731 Depth=3
	s_bcnt1_i32_b64 vcc_lo, s[56:57]
	v_mov_b32_e32 v48, vcc_lo
	ds_add_u64 v0, v[48:49]
	s_trap 2
.LBB10_760:                             ;   in Loop: Header=BB10_731 Depth=3
	s_or_b64 exec, exec, s[54:55]
	s_trap 2
	ds_read_b64 v[2:3], v0
	v_add_co_u32_e32 v34, vcc, v34, v50
	v_addc_co_u32_e32 v35, vcc, 0, v35, vcc
	s_waitcnt lgkmcnt(0)
	v_cmp_lt_u64_e32 vcc, v[2:3], v[34:35]
	s_and_saveexec_b64 s[54:55], vcc
	s_cbranch_execz .LBB10_781
; %bb.761:                              ;   in Loop: Header=BB10_731 Depth=3
	s_mov_b32 s66, 0
	s_mov_b64 s[56:57], 0
                                        ; implicit-def: $sgpr58_sgpr59
                                        ; implicit-def: $sgpr60_sgpr61
	s_branch .LBB10_763
.LBB10_762:                             ;   in Loop: Header=BB10_763 Depth=4
	s_or_b64 exec, exec, s[64:65]
	s_and_b64 vcc, exec, vcc
	s_or_b64 s[56:57], vcc, s[56:57]
	s_andn2_b64 vcc, s[58:59], exec
	s_and_b64 s[58:59], s[60:61], exec
	s_or_b64 s[58:59], vcc, s[58:59]
	s_andn2_b64 exec, exec, s[56:57]
	s_cbranch_execz .LBB10_779
.LBB10_763:                             ;   Parent Loop BB10_81 Depth=1
                                        ;     Parent Loop BB10_550 Depth=2
                                        ;       Parent Loop BB10_731 Depth=3
                                        ; =>      This Inner Loop Header: Depth=4
	s_add_i32 s66, s66, 1
	s_cmpk_lg_i32 s66, 0x2710
	s_cselect_b64 s[62:63], -1, 0
	s_and_b64 vcc, exec, s[62:63]
                                        ; implicit-def: $sgpr64_sgpr65
	s_cbranch_vccnz .LBB10_765
; %bb.764:                              ;   in Loop: Header=BB10_763 Depth=4
	s_trap 2
	ds_read_b64 v[2:3], v0
	s_andn2_b64 s[62:63], s[62:63], exec
	s_mov_b32 s66, 0
	s_mov_b64 s[64:65], -1
	s_waitcnt vmcnt(0) lgkmcnt(0)
	flat_load_dword v0, v[2:3] glc
	s_waitcnt vmcnt(0) lgkmcnt(0)
	buffer_invl2
	buffer_wbinvl1_vol
	v_cmp_eq_u32_e32 vcc, 0, v0
	s_and_b64 vcc, vcc, exec
	s_or_b64 s[62:63], s[62:63], vcc
.LBB10_765:                             ;   in Loop: Header=BB10_763 Depth=4
	s_andn2_b64 s[60:61], s[60:61], exec
	s_and_b64 s[64:65], s[64:65], exec
	s_mov_b64 vcc, -1
	s_or_b64 s[60:61], s[60:61], s[64:65]
	s_and_saveexec_b64 s[64:65], s[62:63]
	s_cbranch_execz .LBB10_762
; %bb.766:                              ;   in Loop: Header=BB10_763 Depth=4
	s_sleep 1
	s_trap 2
	ds_read_b64 v[2:3], v0
	s_andn2_b64 s[60:61], s[60:61], exec
	s_waitcnt lgkmcnt(0)
	v_cmp_ge_u64_e32 vcc, v[2:3], v[34:35]
	s_orn2_b64 vcc, vcc, exec
	s_branch .LBB10_762
.LBB10_767:                             ;   in Loop: Header=BB10_731 Depth=3
	s_or_b64 exec, exec, s[36:37]
	s_and_saveexec_b64 s[28:29], s[10:11]
	s_cbranch_execz .LBB10_755
.LBB10_768:                             ;   in Loop: Header=BB10_731 Depth=3
	s_and_saveexec_b64 vcc, s[46:47]
	s_xor_b64 s[36:37], exec, vcc
	s_cbranch_execz .LBB10_790
; %bb.769:                              ;   in Loop: Header=BB10_731 Depth=3
	s_and_saveexec_b64 s[52:53], s[16:17]
	s_cbranch_execz .LBB10_789
; %bb.770:                              ;   in Loop: Header=BB10_731 Depth=3
	s_mov_b64 s[56:57], exec
	v_mbcnt_lo_u32_b32 v0, s56, 0
	v_mbcnt_hi_u32_b32 v0, s57, v0
	v_cmp_eq_u32_e32 vcc, 0, v0
	s_waitcnt vmcnt(0) lgkmcnt(0)
	buffer_wbinvl1_vol
	s_and_saveexec_b64 s[54:55], vcc
	s_cbranch_execz .LBB10_772
; %bb.771:                              ;   in Loop: Header=BB10_731 Depth=3
	s_bcnt1_i32_b64 vcc_lo, s[56:57]
	v_mov_b32_e32 v48, vcc_lo
	ds_add_u64 v0, v[48:49]
	s_trap 2
.LBB10_772:                             ;   in Loop: Header=BB10_731 Depth=3
	s_or_b64 exec, exec, s[54:55]
	s_trap 2
	ds_read_b64 v[2:3], v0
	v_add_co_u32_e32 v34, vcc, v34, v50
	v_addc_co_u32_e32 v35, vcc, 0, v35, vcc
	s_waitcnt lgkmcnt(0)
	v_cmp_lt_u64_e32 vcc, v[2:3], v[34:35]
	s_and_saveexec_b64 s[54:55], vcc
	s_cbranch_execz .LBB10_788
; %bb.773:                              ;   in Loop: Header=BB10_731 Depth=3
	s_mov_b32 s66, 0
	s_mov_b64 s[56:57], 0
                                        ; implicit-def: $sgpr58_sgpr59
                                        ; implicit-def: $sgpr60_sgpr61
	s_branch .LBB10_775
.LBB10_774:                             ;   in Loop: Header=BB10_775 Depth=4
	s_or_b64 exec, exec, s[64:65]
	s_and_b64 vcc, exec, vcc
	s_or_b64 s[56:57], vcc, s[56:57]
	s_andn2_b64 vcc, s[58:59], exec
	s_and_b64 s[58:59], s[60:61], exec
	s_or_b64 s[58:59], vcc, s[58:59]
	s_andn2_b64 exec, exec, s[56:57]
	s_cbranch_execz .LBB10_786
.LBB10_775:                             ;   Parent Loop BB10_81 Depth=1
                                        ;     Parent Loop BB10_550 Depth=2
                                        ;       Parent Loop BB10_731 Depth=3
                                        ; =>      This Inner Loop Header: Depth=4
	s_add_i32 s66, s66, 1
	s_cmpk_lg_i32 s66, 0x2710
	s_cselect_b64 s[62:63], -1, 0
	s_and_b64 vcc, exec, s[62:63]
                                        ; implicit-def: $sgpr64_sgpr65
	s_cbranch_vccnz .LBB10_777
; %bb.776:                              ;   in Loop: Header=BB10_775 Depth=4
	s_trap 2
	ds_read_b64 v[2:3], v0
	s_andn2_b64 s[62:63], s[62:63], exec
	s_mov_b32 s66, 0
	s_mov_b64 s[64:65], -1
	s_waitcnt lgkmcnt(0)
	flat_load_dword v0, v[2:3] glc
	s_waitcnt vmcnt(0) lgkmcnt(0)
	buffer_invl2
	buffer_wbinvl1_vol
	v_cmp_eq_u32_e32 vcc, 0, v0
	s_and_b64 vcc, vcc, exec
	s_or_b64 s[62:63], s[62:63], vcc
.LBB10_777:                             ;   in Loop: Header=BB10_775 Depth=4
	s_andn2_b64 s[60:61], s[60:61], exec
	s_and_b64 s[64:65], s[64:65], exec
	s_mov_b64 vcc, -1
	s_or_b64 s[60:61], s[60:61], s[64:65]
	s_and_saveexec_b64 s[64:65], s[62:63]
	s_cbranch_execz .LBB10_774
; %bb.778:                              ;   in Loop: Header=BB10_775 Depth=4
	s_sleep 1
	s_trap 2
	ds_read_b64 v[2:3], v0
	s_andn2_b64 s[60:61], s[60:61], exec
	s_waitcnt lgkmcnt(0)
	v_cmp_ge_u64_e32 vcc, v[2:3], v[34:35]
	s_orn2_b64 vcc, vcc, exec
	s_branch .LBB10_774
.LBB10_779:                             ;   in Loop: Header=BB10_731 Depth=3
	s_or_b64 exec, exec, s[56:57]
	s_and_saveexec_b64 vcc, s[58:59]
	s_xor_b64 vcc, exec, vcc
	s_cbranch_execz .LBB10_781
; %bb.780:                              ;   in Loop: Header=BB10_731 Depth=3
	ds_write_b32 v0, v42
	s_trap 2
.LBB10_781:                             ;   in Loop: Header=BB10_731 Depth=3
	s_or_b64 exec, exec, s[54:55]
	;;#ASMSTART
	s_wakeup
	;;#ASMEND
.LBB10_782:                             ;   in Loop: Header=BB10_731 Depth=3
	s_or_b64 exec, exec, s[52:53]
.LBB10_783:                             ;   in Loop: Header=BB10_731 Depth=3
	s_andn2_saveexec_b64 vcc, s[36:37]
	s_cbranch_execz .LBB10_785
; %bb.784:                              ;   in Loop: Header=BB10_731 Depth=3
	;;#ASMSTART
	s_waitcnt lgkmcnt(0) vmcnt(0)
	;;#ASMEND
	s_barrier
.LBB10_785:                             ;   in Loop: Header=BB10_731 Depth=3
	s_or_b64 exec, exec, vcc
	v_and_b32_e32 v1, 16, v62
	s_andn2_saveexec_b64 s[28:29], s[28:29]
	s_cbranch_execz .LBB10_797
	s_branch .LBB10_794
.LBB10_786:                             ;   in Loop: Header=BB10_731 Depth=3
	s_or_b64 exec, exec, s[56:57]
	s_and_saveexec_b64 vcc, s[58:59]
	s_xor_b64 vcc, exec, vcc
	s_cbranch_execz .LBB10_788
; %bb.787:                              ;   in Loop: Header=BB10_731 Depth=3
	ds_write_b32 v0, v42
	s_trap 2
.LBB10_788:                             ;   in Loop: Header=BB10_731 Depth=3
	s_or_b64 exec, exec, s[54:55]
	;;#ASMSTART
	s_wakeup
	;;#ASMEND
.LBB10_789:                             ;   in Loop: Header=BB10_731 Depth=3
	s_or_b64 exec, exec, s[52:53]
.LBB10_790:                             ;   in Loop: Header=BB10_731 Depth=3
	s_andn2_saveexec_b64 vcc, s[36:37]
	s_cbranch_execz .LBB10_792
; %bb.791:                              ;   in Loop: Header=BB10_731 Depth=3
	s_waitcnt vmcnt(0) lgkmcnt(0)
	buffer_wbinvl1_vol
	s_barrier
.LBB10_792:                             ;   in Loop: Header=BB10_731 Depth=3
	s_or_b64 exec, exec, vcc
	s_or_b64 exec, exec, s[28:29]
                                        ; implicit-def: $vgpr1
	s_and_saveexec_b64 s[28:29], s[50:51]
	s_xor_b64 s[28:29], exec, s[28:29]
	s_cbranch_execnz .LBB10_756
.LBB10_793:                             ;   in Loop: Header=BB10_731 Depth=3
	s_andn2_saveexec_b64 s[28:29], s[28:29]
	s_cbranch_execz .LBB10_797
.LBB10_794:                             ;   in Loop: Header=BB10_731 Depth=3
	s_trap 2
	ds_read_b32 v0, v0
	v_cmp_lt_i32_e32 vcc, 0, v58
	v_and_b32_e32 v2, 16, v62
	v_and_b32_e32 v1, 16, v62
	s_waitcnt lgkmcnt(0)
	v_readfirstlane_b32 s36, v0
	s_cmp_eq_u32 s36, 0
	s_cselect_b64 s[36:37], -1, 0
	s_and_b64 s[36:37], vcc, s[36:37]
	v_cmp_ne_u32_e32 vcc, 0, v2
	s_and_b64 s[36:37], vcc, s[36:37]
	s_and_saveexec_b64 vcc, s[36:37]
	s_cbranch_execz .LBB10_796
; %bb.795:                              ;   in Loop: Header=BB10_731 Depth=3
	v_mov_b32_e32 v1, 1
	s_waitcnt vmcnt(0)
	buffer_wbinvl1_vol
.LBB10_796:                             ;   in Loop: Header=BB10_731 Depth=3
	s_or_b64 exec, exec, vcc
.LBB10_797:                             ;   in Loop: Header=BB10_731 Depth=3
	s_or_b64 exec, exec, s[28:29]
	v_cmp_ne_u32_e32 vcc, 0, v1
	s_xor_b64 s[28:29], s[12:13], -1
	s_and_b64 vcc, vcc, s[28:29]
	s_and_saveexec_b64 s[28:29], vcc
	s_cbranch_execz .LBB10_799
; %bb.798:                              ;   in Loop: Header=BB10_731 Depth=3
	flat_store_dword v[36:37], v42
.LBB10_799:                             ;   in Loop: Header=BB10_731 Depth=3
	s_or_b64 exec, exec, s[28:29]
	v_and_b32_e32 v0, 48, v62
	v_cmp_ne_u32_e32 vcc, 0, v0
	s_and_saveexec_b64 s[28:29], vcc
	s_cbranch_execz .LBB10_730
; %bb.800:                              ;   in Loop: Header=BB10_731 Depth=3
	v_add_co_u32_e32 v26, vcc, 2, v26
	v_addc_co_u32_e32 v27, vcc, 0, v27, vcc
	flat_store_dwordx2 v[28:29], v[26:27]
	s_branch .LBB10_730
.LBB10_801:                             ;   in Loop: Header=BB10_550 Depth=2
	s_or_b64 exec, exec, s[54:55]
	v_accvgpr_read_b32 v56, a29
	s_or_b64 exec, exec, s[52:53]
	v_cmp_gt_i32_e32 vcc, 2, v1
	s_and_saveexec_b64 s[30:31], vcc
	s_cbranch_execnz .LBB10_729
.LBB10_802:                             ;   in Loop: Header=BB10_550 Depth=2
	s_or_b64 exec, exec, s[30:31]
	s_add_i32 s28, s68, 1
	s_cmp_eq_u32 s68, s75
	s_cbranch_scc0 .LBB10_804
	s_branch .LBB10_805
.LBB10_803:                             ;   in Loop: Header=BB10_550 Depth=2
	s_or_b64 exec, exec, s[34:35]
	s_or_b64 exec, exec, s[30:31]
	s_add_i32 s28, s68, 1
	s_cmp_eq_u32 s68, s75
	s_cbranch_scc1 .LBB10_805
.LBB10_804:                             ;   in Loop: Header=BB10_550 Depth=2
	s_mov_b32 s68, s28
	s_branch .LBB10_550
.LBB10_805:                             ;   in Loop: Header=BB10_81 Depth=1
	v_mov_b32_e32 v1, 0
	v_mov_b32_e32 v22, 0
	s_and_saveexec_b64 s[28:29], s[26:27]
	s_cbranch_execz .LBB10_945
; %bb.806:                              ;   in Loop: Header=BB10_81 Depth=1
	v_accvgpr_read_b32 v0, a6
	v_accvgpr_read_b32 v1, a7
	flat_load_dword v0, v[0:1] offset:4
	v_accvgpr_read_b32 v4, a34
	v_accvgpr_read_b32 v2, a14
	;; [unrolled: 1-line block ×4, first 2 shown]
	s_mov_b32 s66, 1
	s_mov_b64 s[34:35], -1
	s_mov_b64 s[30:31], 0
	v_mov_b32_e32 v22, 0
	s_waitcnt vmcnt(0) lgkmcnt(0)
	v_ashrrev_i32_e32 v1, 31, v0
	v_mad_u64_u32 v[60:61], s[26:27], v2, v0, v[4:5]
	v_mul_lo_u32 v0, v3, v0
	v_mul_lo_u32 v1, v2, v1
	v_add3_u32 v61, v0, v61, v1
	v_accvgpr_write_b32 a34, v60
	v_accvgpr_write_b32 a35, v61
	s_branch .LBB10_808
.LBB10_807:                             ;   in Loop: Header=BB10_808 Depth=2
	s_or_b64 exec, exec, s[26:27]
	v_add_u32_e32 v22, v56, v22
	v_cmp_ge_i32_e32 vcc, v22, v7
	s_xor_b64 s[26:27], s[34:35], -1
	s_or_b64 s[26:27], s[26:27], vcc
	s_and_b64 s[26:27], exec, s[26:27]
	s_or_b64 s[30:31], s[26:27], s[30:31]
	s_mov_b64 s[34:35], 0
	v_mov_b32_e32 v1, s66
	s_mov_b32 s66, 2
	s_andn2_b64 exec, exec, s[30:31]
	s_cbranch_execz .LBB10_944
.LBB10_808:                             ;   Parent Loop BB10_81 Depth=1
                                        ; =>  This Loop Header: Depth=2
                                        ;       Child Loop BB10_816 Depth 3
                                        ;       Child Loop BB10_840 Depth 3
	;; [unrolled: 1-line block ×9, first 2 shown]
	s_and_saveexec_b64 s[26:27], s[4:5]
	s_cbranch_execz .LBB10_810
; %bb.809:                              ;   in Loop: Header=BB10_808 Depth=2
	s_trap 2
	ds_read_b128 v[14:17], v0
	v_ashrrev_i32_e32 v10, 31, v22
	s_waitcnt lgkmcnt(0)
	v_add_co_u32_e32 v0, vcc, v14, v60
	v_addc_co_u32_e32 v1, vcc, v15, v61, vcc
	v_add_co_u32_e32 v4, vcc, v0, v22
	v_addc_co_u32_e32 v5, vcc, v1, v10, vcc
	ds_write_b64 v0, v[4:5]
	v_add_co_u32_e32 v0, vcc, v16, v60
	v_addc_co_u32_e32 v1, vcc, v17, v61, vcc
	v_add_co_u32_e32 v0, vcc, v0, v22
	v_addc_co_u32_e32 v1, vcc, v1, v10, vcc
	v_cmp_ne_u64_e32 vcc, 0, v[16:17]
	v_cndmask_b32_e32 v5, 0, v1, vcc
	v_cndmask_b32_e32 v4, 0, v0, vcc
	ds_write_b64 v0, v[4:5]
.LBB10_810:                             ;   in Loop: Header=BB10_808 Depth=2
	s_or_b64 exec, exec, s[26:27]
	v_and_b32_e32 v0, 4, v62
	v_cmp_ne_u32_e32 vcc, 0, v0
	s_mov_b64 s[36:37], -1
	s_and_saveexec_b64 s[26:27], vcc
	s_cbranch_execz .LBB10_820
; %bb.811:                              ;   in Loop: Header=BB10_808 Depth=2
	v_add_co_u32_e32 v4, vcc, 2, v26
	v_addc_co_u32_e32 v5, vcc, 0, v27, vcc
	v_cmp_lt_u64_e32 vcc, v[38:39], v[4:5]
	v_mov_b32_e32 v1, 1
	s_and_saveexec_b64 s[36:37], vcc
	s_cbranch_execz .LBB10_831
; %bb.812:                              ;   in Loop: Header=BB10_808 Depth=2
	s_mov_b64 s[52:53], 0
	v_mov_b32_e32 v1, 0
                                        ; implicit-def: $sgpr54_sgpr55
	s_branch .LBB10_816
.LBB10_813:                             ;   in Loop: Header=BB10_816 Depth=3
	s_or_b64 exec, exec, s[62:63]
	v_mov_b32_e32 v10, 0
	s_orn2_b64 s[60:61], s[60:61], exec
.LBB10_814:                             ;   in Loop: Header=BB10_816 Depth=3
	s_or_b64 exec, exec, s[58:59]
	s_andn2_b64 vcc, s[54:55], exec
	s_and_b64 s[54:55], s[60:61], exec
	s_or_b64 s[54:55], vcc, s[54:55]
	v_mov_b32_e32 v1, v10
.LBB10_815:                             ;   in Loop: Header=BB10_816 Depth=3
	s_or_b64 exec, exec, s[56:57]
	s_waitcnt vmcnt(0) lgkmcnt(0)
	v_cmp_ge_u64_e32 vcc, v[38:39], v[4:5]
	s_xor_b64 s[56:57], s[54:55], -1
	s_or_b64 vcc, s[56:57], vcc
	s_and_b64 vcc, exec, vcc
	s_or_b64 s[52:53], vcc, s[52:53]
	s_andn2_b64 exec, exec, s[52:53]
	s_cbranch_execz .LBB10_830
.LBB10_816:                             ;   Parent Loop BB10_81 Depth=1
                                        ;     Parent Loop BB10_808 Depth=2
                                        ; =>    This Inner Loop Header: Depth=3
	s_sleep 1
	flat_load_dwordx2 v[38:39], v[28:29] glc
	v_and_b32_e32 v0, 64, v62
	v_cmp_eq_u32_e32 vcc, 0, v0
	s_andn2_b64 s[54:55], s[54:55], exec
	s_and_saveexec_b64 s[56:57], vcc
	s_cbranch_execz .LBB10_815
; %bb.817:                              ;   in Loop: Header=BB10_816 Depth=3
	v_add_u32_e32 v10, 1, v1
	v_cmp_lt_i32_e32 vcc, s72, v1
	s_mov_b64 s[60:61], -1
	s_and_saveexec_b64 s[58:59], vcc
	s_cbranch_execz .LBB10_814
; %bb.818:                              ;   in Loop: Header=BB10_816 Depth=3
	s_trap 2
	ds_read_b64 v[14:15], v0
	s_waitcnt vmcnt(0) lgkmcnt(0)
	flat_load_dword v1, v[14:15] glc
	s_waitcnt vmcnt(0) lgkmcnt(0)
	buffer_invl2
	buffer_wbinvl1_vol
	v_cmp_ne_u32_e32 vcc, 0, v1
	s_and_saveexec_b64 s[62:63], vcc
	s_cbranch_execz .LBB10_813
; %bb.819:                              ;   in Loop: Header=BB10_816 Depth=3
	v_or_b32_e32 v62, 64, v62
	s_xor_b64 s[60:61], exec, -1
	ds_write_b32 v0, v1
	s_trap 2
	s_branch .LBB10_813
.LBB10_820:                             ;   in Loop: Header=BB10_808 Depth=2
	s_or_b64 exec, exec, s[26:27]
	s_xor_b64 s[26:27], s[36:37], -1
	s_and_saveexec_b64 s[36:37], s[26:27]
	s_cbranch_execz .LBB10_832
.LBB10_821:                             ;   in Loop: Header=BB10_808 Depth=2
	v_and_b32_e32 v0, 0x100, v62
	v_cmp_ne_u32_e32 vcc, 0, v0
	v_and_b32_e32 v1, 7, v26
	s_mov_b64 s[26:27], -1
                                        ; implicit-def: $vgpr4_vgpr5
	s_and_saveexec_b64 s[52:53], vcc
	s_cbranch_execz .LBB10_825
; %bb.822:                              ;   in Loop: Header=BB10_808 Depth=2
	v_mad_u64_u32 v[14:15], s[26:27], v1, 24, v[12:13]
	flat_load_dword v0, v[14:15]
                                        ; implicit-def: $vgpr4_vgpr5
	s_waitcnt vmcnt(0) lgkmcnt(0)
	v_cmp_ne_u32_e32 vcc, 1, v0
	v_cmp_eq_u32_e64 s[26:27], 1, v0
	s_and_saveexec_b64 s[54:55], s[26:27]
	s_cbranch_execz .LBB10_824
; %bb.823:                              ;   in Loop: Header=BB10_808 Depth=2
	flat_load_dword v4, v[14:15] offset:4 glc
	s_waitcnt vmcnt(0) lgkmcnt(0)
	v_ashrrev_i32_e32 v5, 31, v4
.LBB10_824:                             ;   in Loop: Header=BB10_808 Depth=2
	s_or_b64 exec, exec, s[54:55]
	s_orn2_b64 s[26:27], vcc, exec
.LBB10_825:                             ;   in Loop: Header=BB10_808 Depth=2
	s_or_b64 exec, exec, s[52:53]
	s_and_saveexec_b64 vcc, s[26:27]
; %bb.826:                              ;   in Loop: Header=BB10_808 Depth=2
	v_mad_i64_i32 v[4:5], s[26:27], v1, v30, 0
; %bb.827:                              ;   in Loop: Header=BB10_808 Depth=2
	s_or_b64 exec, exec, vcc
	v_add_co_u32_e32 v4, vcc, v32, v4
	v_addc_co_u32_e32 v5, vcc, v33, v5, vcc
	ds_write_b64 v0, v[4:5] offset:720
	v_and_b32_e32 v0, 0x2000, v62
	v_cmp_ne_u32_e32 vcc, 0, v0
	s_and_saveexec_b64 s[26:27], vcc
	s_cbranch_execz .LBB10_829
; %bb.828:                              ;   in Loop: Header=BB10_808 Depth=2
	ds_read_b64 v[4:5], v0 offset:584
	s_waitcnt lgkmcnt(0)
	v_add_co_u32_e32 v4, vcc, 1, v4
	v_addc_co_u32_e32 v5, vcc, 0, v5, vcc
	ds_write_b64 v0, v[4:5] offset:584
.LBB10_829:                             ;   in Loop: Header=BB10_808 Depth=2
	s_or_b64 exec, exec, s[26:27]
	v_add_co_u32_e32 v26, vcc, 2, v26
	v_addc_co_u32_e32 v27, vcc, 0, v27, vcc
	s_or_b64 exec, exec, s[36:37]
	s_and_saveexec_b64 s[26:27], s[10:11]
	s_cbranch_execz .LBB10_851
	s_branch .LBB10_833
.LBB10_830:                             ;   in Loop: Header=BB10_808 Depth=2
	s_or_b64 exec, exec, s[52:53]
	v_and_b32_e32 v1, 4, v62
.LBB10_831:                             ;   in Loop: Header=BB10_808 Depth=2
	s_or_b64 exec, exec, s[36:37]
	v_cmp_eq_u32_e32 vcc, 0, v1
	s_orn2_b64 s[36:37], vcc, exec
	;;#ASMSTART
	s_wakeup
	;;#ASMEND
	s_or_b64 exec, exec, s[26:27]
	s_xor_b64 s[26:27], s[36:37], -1
	s_and_saveexec_b64 s[36:37], s[26:27]
	s_cbranch_execnz .LBB10_821
.LBB10_832:                             ;   in Loop: Header=BB10_808 Depth=2
	s_or_b64 exec, exec, s[36:37]
	s_and_saveexec_b64 s[26:27], s[10:11]
	s_cbranch_execz .LBB10_851
.LBB10_833:                             ;   in Loop: Header=BB10_808 Depth=2
	s_and_saveexec_b64 vcc, s[46:47]
	s_xor_b64 s[36:37], exec, vcc
	s_cbranch_execz .LBB10_848
; %bb.834:                              ;   in Loop: Header=BB10_808 Depth=2
	s_and_saveexec_b64 s[52:53], s[16:17]
	s_cbranch_execz .LBB10_847
; %bb.835:                              ;   in Loop: Header=BB10_808 Depth=2
	s_mov_b64 s[56:57], exec
	v_mbcnt_lo_u32_b32 v0, s56, 0
	v_mbcnt_hi_u32_b32 v0, s57, v0
	v_cmp_eq_u32_e32 vcc, 0, v0
	s_waitcnt vmcnt(0) lgkmcnt(0)
	buffer_wbinvl1_vol
	s_and_saveexec_b64 s[54:55], vcc
	s_cbranch_execz .LBB10_837
; %bb.836:                              ;   in Loop: Header=BB10_808 Depth=2
	s_bcnt1_i32_b64 vcc_lo, s[56:57]
	v_mov_b32_e32 v48, vcc_lo
	ds_add_u64 v0, v[48:49]
	s_trap 2
.LBB10_837:                             ;   in Loop: Header=BB10_808 Depth=2
	s_or_b64 exec, exec, s[54:55]
	s_trap 2
	ds_read_b64 v[4:5], v0
	v_add_co_u32_e32 v34, vcc, v34, v50
	v_addc_co_u32_e32 v35, vcc, 0, v35, vcc
	s_waitcnt lgkmcnt(0)
	v_cmp_lt_u64_e32 vcc, v[4:5], v[34:35]
	s_and_saveexec_b64 s[54:55], vcc
	s_cbranch_execz .LBB10_846
; %bb.838:                              ;   in Loop: Header=BB10_808 Depth=2
	s_mov_b32 s67, 0
	s_mov_b64 s[56:57], 0
                                        ; implicit-def: $sgpr58_sgpr59
                                        ; implicit-def: $sgpr60_sgpr61
	s_branch .LBB10_840
.LBB10_839:                             ;   in Loop: Header=BB10_840 Depth=3
	s_or_b64 exec, exec, s[64:65]
	s_and_b64 vcc, exec, vcc
	s_or_b64 s[56:57], vcc, s[56:57]
	s_andn2_b64 vcc, s[58:59], exec
	s_and_b64 s[58:59], s[60:61], exec
	s_or_b64 s[58:59], vcc, s[58:59]
	s_andn2_b64 exec, exec, s[56:57]
	s_cbranch_execz .LBB10_844
.LBB10_840:                             ;   Parent Loop BB10_81 Depth=1
                                        ;     Parent Loop BB10_808 Depth=2
                                        ; =>    This Inner Loop Header: Depth=3
	s_add_i32 s67, s67, 1
	s_cmpk_lg_i32 s67, 0x2710
	s_cselect_b64 s[62:63], -1, 0
	s_and_b64 vcc, exec, s[62:63]
                                        ; implicit-def: $sgpr64_sgpr65
	s_cbranch_vccnz .LBB10_842
; %bb.841:                              ;   in Loop: Header=BB10_840 Depth=3
	s_trap 2
	ds_read_b64 v[4:5], v0
	s_andn2_b64 s[62:63], s[62:63], exec
	s_mov_b32 s67, 0
	s_mov_b64 s[64:65], -1
	s_waitcnt lgkmcnt(0)
	flat_load_dword v0, v[4:5] glc
	s_waitcnt vmcnt(0) lgkmcnt(0)
	buffer_invl2
	buffer_wbinvl1_vol
	v_cmp_eq_u32_e32 vcc, 0, v0
	s_and_b64 vcc, vcc, exec
	s_or_b64 s[62:63], s[62:63], vcc
.LBB10_842:                             ;   in Loop: Header=BB10_840 Depth=3
	s_andn2_b64 s[60:61], s[60:61], exec
	s_and_b64 s[64:65], s[64:65], exec
	s_mov_b64 vcc, -1
	s_or_b64 s[60:61], s[60:61], s[64:65]
	s_and_saveexec_b64 s[64:65], s[62:63]
	s_cbranch_execz .LBB10_839
; %bb.843:                              ;   in Loop: Header=BB10_840 Depth=3
	s_sleep 1
	s_trap 2
	ds_read_b64 v[4:5], v0
	s_andn2_b64 s[60:61], s[60:61], exec
	s_waitcnt lgkmcnt(0)
	v_cmp_ge_u64_e32 vcc, v[4:5], v[34:35]
	s_orn2_b64 vcc, vcc, exec
	s_branch .LBB10_839
.LBB10_844:                             ;   in Loop: Header=BB10_808 Depth=2
	s_or_b64 exec, exec, s[56:57]
	s_and_saveexec_b64 vcc, s[58:59]
	s_xor_b64 vcc, exec, vcc
	s_cbranch_execz .LBB10_846
; %bb.845:                              ;   in Loop: Header=BB10_808 Depth=2
	ds_write_b32 v0, v42
	s_trap 2
.LBB10_846:                             ;   in Loop: Header=BB10_808 Depth=2
	s_or_b64 exec, exec, s[54:55]
	;;#ASMSTART
	s_wakeup
	;;#ASMEND
.LBB10_847:                             ;   in Loop: Header=BB10_808 Depth=2
	s_or_b64 exec, exec, s[52:53]
.LBB10_848:                             ;   in Loop: Header=BB10_808 Depth=2
	s_andn2_saveexec_b64 vcc, s[36:37]
	s_cbranch_execz .LBB10_850
; %bb.849:                              ;   in Loop: Header=BB10_808 Depth=2
	s_waitcnt vmcnt(0) lgkmcnt(0)
	buffer_wbinvl1_vol
	s_barrier
.LBB10_850:                             ;   in Loop: Header=BB10_808 Depth=2
	s_or_b64 exec, exec, vcc
.LBB10_851:                             ;   in Loop: Header=BB10_808 Depth=2
	s_or_b64 exec, exec, s[26:27]
	s_trap 2
	ds_read_b32 v1, v0
	v_and_b32_e32 v0, 0x4000, v62
	v_cmp_ne_u32_e32 vcc, 0, v0
	s_xor_b64 s[26:27], s[6:7], -1
	s_and_b64 vcc, s[26:27], vcc
	s_and_saveexec_b64 s[26:27], vcc
	s_cbranch_execz .LBB10_870
; %bb.852:                              ;   in Loop: Header=BB10_808 Depth=2
	s_and_saveexec_b64 vcc, s[46:47]
	s_xor_b64 s[36:37], exec, vcc
	s_cbranch_execz .LBB10_867
; %bb.853:                              ;   in Loop: Header=BB10_808 Depth=2
	s_and_saveexec_b64 s[52:53], s[16:17]
	s_cbranch_execz .LBB10_866
; %bb.854:                              ;   in Loop: Header=BB10_808 Depth=2
	s_mov_b64 s[56:57], exec
	v_mbcnt_lo_u32_b32 v0, s56, 0
	v_mbcnt_hi_u32_b32 v0, s57, v0
	v_cmp_eq_u32_e32 vcc, 0, v0
	s_waitcnt vmcnt(0) lgkmcnt(0)
	buffer_wbinvl1_vol
	s_and_saveexec_b64 s[54:55], vcc
	s_cbranch_execz .LBB10_856
; %bb.855:                              ;   in Loop: Header=BB10_808 Depth=2
	s_bcnt1_i32_b64 vcc_lo, s[56:57]
	v_mov_b32_e32 v48, vcc_lo
	ds_add_u64 v0, v[48:49]
	s_trap 2
.LBB10_856:                             ;   in Loop: Header=BB10_808 Depth=2
	s_or_b64 exec, exec, s[54:55]
	s_trap 2
	ds_read_b64 v[4:5], v0
	v_add_co_u32_e32 v34, vcc, v34, v50
	v_addc_co_u32_e32 v35, vcc, 0, v35, vcc
	s_waitcnt lgkmcnt(0)
	v_cmp_lt_u64_e32 vcc, v[4:5], v[34:35]
	s_and_saveexec_b64 s[54:55], vcc
	s_cbranch_execz .LBB10_865
; %bb.857:                              ;   in Loop: Header=BB10_808 Depth=2
	s_mov_b32 s67, 0
	s_mov_b64 s[56:57], 0
                                        ; implicit-def: $sgpr58_sgpr59
                                        ; implicit-def: $sgpr60_sgpr61
	s_branch .LBB10_859
.LBB10_858:                             ;   in Loop: Header=BB10_859 Depth=3
	s_or_b64 exec, exec, s[64:65]
	s_and_b64 vcc, exec, vcc
	s_or_b64 s[56:57], vcc, s[56:57]
	s_andn2_b64 vcc, s[58:59], exec
	s_and_b64 s[58:59], s[60:61], exec
	s_or_b64 s[58:59], vcc, s[58:59]
	s_andn2_b64 exec, exec, s[56:57]
	s_cbranch_execz .LBB10_863
.LBB10_859:                             ;   Parent Loop BB10_81 Depth=1
                                        ;     Parent Loop BB10_808 Depth=2
                                        ; =>    This Inner Loop Header: Depth=3
	s_add_i32 s67, s67, 1
	s_cmpk_lg_i32 s67, 0x2710
	s_cselect_b64 s[62:63], -1, 0
	s_and_b64 vcc, exec, s[62:63]
                                        ; implicit-def: $sgpr64_sgpr65
	s_cbranch_vccnz .LBB10_861
; %bb.860:                              ;   in Loop: Header=BB10_859 Depth=3
	s_trap 2
	ds_read_b64 v[4:5], v0
	s_andn2_b64 s[62:63], s[62:63], exec
	s_mov_b32 s67, 0
	s_mov_b64 s[64:65], -1
	s_waitcnt lgkmcnt(0)
	flat_load_dword v0, v[4:5] glc
	s_waitcnt vmcnt(0) lgkmcnt(0)
	buffer_invl2
	buffer_wbinvl1_vol
	v_cmp_eq_u32_e32 vcc, 0, v0
	s_and_b64 vcc, vcc, exec
	s_or_b64 s[62:63], s[62:63], vcc
.LBB10_861:                             ;   in Loop: Header=BB10_859 Depth=3
	s_andn2_b64 s[60:61], s[60:61], exec
	s_and_b64 s[64:65], s[64:65], exec
	s_mov_b64 vcc, -1
	s_or_b64 s[60:61], s[60:61], s[64:65]
	s_and_saveexec_b64 s[64:65], s[62:63]
	s_cbranch_execz .LBB10_858
; %bb.862:                              ;   in Loop: Header=BB10_859 Depth=3
	s_sleep 1
	s_trap 2
	ds_read_b64 v[4:5], v0
	s_andn2_b64 s[60:61], s[60:61], exec
	s_waitcnt lgkmcnt(0)
	v_cmp_ge_u64_e32 vcc, v[4:5], v[34:35]
	s_orn2_b64 vcc, vcc, exec
	s_branch .LBB10_858
.LBB10_863:                             ;   in Loop: Header=BB10_808 Depth=2
	s_or_b64 exec, exec, s[56:57]
	s_and_saveexec_b64 vcc, s[58:59]
	s_xor_b64 vcc, exec, vcc
	s_cbranch_execz .LBB10_865
; %bb.864:                              ;   in Loop: Header=BB10_808 Depth=2
	ds_write_b32 v0, v42
	s_trap 2
.LBB10_865:                             ;   in Loop: Header=BB10_808 Depth=2
	s_or_b64 exec, exec, s[54:55]
	;;#ASMSTART
	s_wakeup
	;;#ASMEND
.LBB10_866:                             ;   in Loop: Header=BB10_808 Depth=2
	s_or_b64 exec, exec, s[52:53]
.LBB10_867:                             ;   in Loop: Header=BB10_808 Depth=2
	s_andn2_saveexec_b64 vcc, s[36:37]
	s_cbranch_execz .LBB10_869
; %bb.868:                              ;   in Loop: Header=BB10_808 Depth=2
	s_waitcnt vmcnt(0) lgkmcnt(0)
	buffer_wbinvl1_vol
	s_barrier
.LBB10_869:                             ;   in Loop: Header=BB10_808 Depth=2
	s_or_b64 exec, exec, vcc
.LBB10_870:                             ;   in Loop: Header=BB10_808 Depth=2
	s_or_b64 exec, exec, s[26:27]
	s_trap 2
	ds_read_b64 v[4:5], v0
	v_sub_u32_e32 v0, v7, v22
	v_min_i32_e32 v56, v56, v0
	v_mov_b32_e32 v23, 0
	s_waitcnt lgkmcnt(0)
	v_readfirstlane_b32 s26, v4
	v_readfirstlane_b32 s27, v5
	s_cmp_eq_u64 s[26:27], 0
	s_cselect_b64 s[26:27], -1, 0
	s_or_b64 s[26:27], s[26:27], s[26:27]
	s_and_b64 vcc, exec, s[26:27]
	s_cbranch_vccnz .LBB10_886
; %bb.871:                              ;   in Loop: Header=BB10_808 Depth=2
	s_mov_b64 s[26:27], -1
	s_and_saveexec_b64 s[36:37], s[22:23]
	s_cbranch_execz .LBB10_873
; %bb.872:                              ;   in Loop: Header=BB10_808 Depth=2
	ds_read_b32 v0, v0 offset:720
	s_waitcnt lgkmcnt(0)
	v_and_b32_e32 v0, 15, v0
	v_cmp_eq_u32_e32 vcc, 0, v0
	s_orn2_b64 s[26:27], vcc, exec
.LBB10_873:                             ;   in Loop: Header=BB10_808 Depth=2
	s_or_b64 exec, exec, s[36:37]
	s_and_saveexec_b64 s[36:37], s[18:19]
	s_cbranch_execz .LBB10_875
; %bb.874:                              ;   in Loop: Header=BB10_808 Depth=2
	ds_read_b32 v0, v0 offset:784
	s_waitcnt lgkmcnt(0)
	v_and_b32_e32 v0, 15, v0
	v_cmp_eq_u32_e32 vcc, 0, v0
	s_and_b64 vcc, s[26:27], vcc
	s_andn2_b64 s[26:27], s[26:27], exec
	s_and_b64 vcc, vcc, exec
	s_or_b64 s[26:27], s[26:27], vcc
.LBB10_875:                             ;   in Loop: Header=BB10_808 Depth=2
	s_or_b64 exec, exec, s[36:37]
	v_cmp_eq_u32_e32 vcc, 0, v1
	s_xor_b64 s[26:27], s[26:27], -1
	v_cndmask_b32_e32 v23, 0, v56, vcc
	v_cndmask_b32_e64 v0, 0, 1, s[26:27]
	v_mov_b32_e32 v10, 0
	s_mov_b64 s[52:53], -1
	;;#ASMSTART
	;;#ASMEND
	v_cmp_ne_u32_e32 vcc, 0, v0
	v_mov_b32_e32 v1, v23
	v_mov_b32_e32 v18, v41
	;; [unrolled: 1-line block ×3, first 2 shown]
	s_cbranch_vccz .LBB10_898
; %bb.876:                              ;   in Loop: Header=BB10_808 Depth=2
	s_and_saveexec_b64 s[26:27], s[52:53]
	s_cbranch_execz .LBB10_911
.LBB10_877:                             ;   in Loop: Header=BB10_808 Depth=2
	v_ashrrev_i32_e32 v0, 31, v1
	v_lshrrev_b32_e32 v0, 22, v0
	v_add_u32_e32 v0, v1, v0
	v_ashrrev_i32_e32 v48, 10, v0
	v_sub_u32_e32 v19, v48, v14
	v_ashrrev_i32_e32 v0, 31, v18
	v_cmp_lt_i32_e32 vcc, 0, v19
	v_lshrrev_b32_e32 v31, 26, v0
	s_and_saveexec_b64 s[36:37], vcc
	s_cbranch_execz .LBB10_881
; %bb.878:                              ;   in Loop: Header=BB10_808 Depth=2
	s_trap 2
	ds_read_b64 v[4:5], v0
	v_add_u32_e32 v0, v18, v31
	v_and_b32_e32 v0, 0xffffffc0, v0
	v_sub_u32_e32 v0, v18, v0
	v_lshlrev_b32_e32 v14, 10, v14
	v_add3_u32 v14, v10, v0, v14
	v_mov_b32_e32 v3, v56
	v_ashrrev_i32_e32 v15, 31, v14
	s_mov_b64 s[52:53], 0
	s_waitcnt lgkmcnt(0)
	v_pk_mov_b32 v[16:17], v[4:5], v[4:5] op_sel:[0,1]
.LBB10_879:                             ;   Parent Loop BB10_81 Depth=1
                                        ;     Parent Loop BB10_808 Depth=2
                                        ; =>    This Inner Loop Header: Depth=3
	v_add_co_u32_e32 v44, vcc, v14, v16
	v_addc_co_u32_e32 v45, vcc, v15, v17, vcc
	flat_load_ubyte v0, v[44:45] glc slc
	flat_load_ubyte v24, v[44:45] offset:64 glc slc
	flat_load_ubyte v51, v[44:45] offset:128 glc slc
	;; [unrolled: 1-line block ×15, first 2 shown]
	v_add_co_u32_e32 v44, vcc, v14, v4
	v_addc_co_u32_e32 v45, vcc, v15, v5, vcc
	v_add_co_u32_e32 v16, vcc, v16, v11
	v_addc_co_u32_e32 v17, vcc, v17, v6, vcc
	v_add_co_u32_e32 v4, vcc, v4, v11
	v_sub_u32_e32 v19, v19, v50
	v_addc_co_u32_e32 v5, vcc, v5, v6, vcc
	v_cmp_gt_i32_e32 vcc, 1, v19
	s_or_b64 s[52:53], vcc, s[52:53]
	s_waitcnt vmcnt(0) lgkmcnt(0)
	flat_store_byte v[44:45], v0 glc slc
	flat_store_byte v[44:45], v24 offset:64 glc slc
	flat_store_byte v[44:45], v51 offset:128 glc slc
	;; [unrolled: 1-line block ×15, first 2 shown]
	s_andn2_b64 exec, exec, s[52:53]
	s_cbranch_execnz .LBB10_879
; %bb.880:                              ;   in Loop: Header=BB10_808 Depth=2
	s_or_b64 exec, exec, s[52:53]
	v_accvgpr_read_b32 v61, a35
	v_accvgpr_read_b32 v43, a21
	;; [unrolled: 1-line block ×6, first 2 shown]
	v_mov_b32_e32 v56, v3
	v_accvgpr_read_b32 v60, a34
.LBB10_881:                             ;   in Loop: Header=BB10_808 Depth=2
	s_or_b64 exec, exec, s[36:37]
	v_lshlrev_b32_e32 v4, 10, v48
	v_cmp_ne_u32_e32 vcc, v1, v4
	s_and_saveexec_b64 s[36:37], vcc
	s_cbranch_execz .LBB10_885
; %bb.882:                              ;   in Loop: Header=BB10_808 Depth=2
	v_add_u32_e32 v0, v18, v31
	v_and_b32_e32 v0, 0xffffffc0, v0
	v_sub_u32_e32 v0, v18, v0
	v_lshlrev_b32_e32 v2, 6, v19
	v_sub_u32_e32 v0, v0, v2
	v_add_u32_e32 v14, v4, v0
	v_sub_u32_e32 v1, v1, v14
	v_cmp_lt_i32_e32 vcc, 0, v1
	s_and_b64 exec, exec, vcc
	s_cbranch_execz .LBB10_885
; %bb.883:                              ;   in Loop: Header=BB10_808 Depth=2
	s_trap 2
	ds_read_b64 v[4:5], v0
	v_add_u32_e32 v14, v14, v10
	v_ashrrev_i32_e32 v15, 31, v14
	s_mov_b64 s[52:53], 0
.LBB10_884:                             ;   Parent Loop BB10_81 Depth=1
                                        ;     Parent Loop BB10_808 Depth=2
                                        ; =>    This Inner Loop Header: Depth=3
	s_waitcnt lgkmcnt(0)
	v_add_co_u32_e32 v16, vcc, v4, v14
	v_addc_co_u32_e32 v17, vcc, v5, v15, vcc
	flat_load_ubyte v0, v[16:17] glc slc
	v_add_co_u32_e32 v14, vcc, v14, v8
	v_sub_u32_e32 v1, v1, v25
	v_addc_co_u32_e32 v15, vcc, v15, v9, vcc
	v_cmp_gt_i32_e32 vcc, 1, v1
	s_or_b64 s[52:53], vcc, s[52:53]
	s_waitcnt vmcnt(0) lgkmcnt(0)
	flat_store_byte v[16:17], v0 glc slc
	s_andn2_b64 exec, exec, s[52:53]
	s_cbranch_execnz .LBB10_884
.LBB10_885:                             ;   in Loop: Header=BB10_808 Depth=2
	s_or_b64 exec, exec, s[36:37]
	s_or_b64 exec, exec, s[26:27]
	s_and_saveexec_b64 s[26:27], s[10:11]
	s_cbranch_execz .LBB10_912
	s_branch .LBB10_887
.LBB10_886:                             ;   in Loop: Header=BB10_808 Depth=2
	s_and_saveexec_b64 s[26:27], s[10:11]
	s_cbranch_execz .LBB10_912
.LBB10_887:                             ;   in Loop: Header=BB10_808 Depth=2
	s_and_saveexec_b64 vcc, s[46:47]
	s_xor_b64 s[36:37], exec, vcc
	s_cbranch_execz .LBB10_920
; %bb.888:                              ;   in Loop: Header=BB10_808 Depth=2
	s_and_saveexec_b64 s[52:53], s[16:17]
	s_cbranch_execz .LBB10_919
; %bb.889:                              ;   in Loop: Header=BB10_808 Depth=2
	s_mov_b64 s[56:57], exec
	v_mbcnt_lo_u32_b32 v0, s56, 0
	v_mbcnt_hi_u32_b32 v0, s57, v0
	v_cmp_eq_u32_e32 vcc, 0, v0
	s_waitcnt vmcnt(0) lgkmcnt(0)
	buffer_wbinvl1_vol
	s_and_saveexec_b64 s[54:55], vcc
	s_cbranch_execz .LBB10_891
; %bb.890:                              ;   in Loop: Header=BB10_808 Depth=2
	s_bcnt1_i32_b64 vcc_lo, s[56:57]
	v_mov_b32_e32 v48, vcc_lo
	ds_add_u64 v0, v[48:49]
	s_trap 2
.LBB10_891:                             ;   in Loop: Header=BB10_808 Depth=2
	s_or_b64 exec, exec, s[54:55]
	s_trap 2
	ds_read_b64 v[4:5], v0
	v_add_co_u32_e32 v34, vcc, v34, v50
	v_addc_co_u32_e32 v35, vcc, 0, v35, vcc
	s_waitcnt lgkmcnt(0)
	v_cmp_lt_u64_e32 vcc, v[4:5], v[34:35]
	s_and_saveexec_b64 s[54:55], vcc
	s_cbranch_execz .LBB10_918
; %bb.892:                              ;   in Loop: Header=BB10_808 Depth=2
	s_mov_b32 s67, 0
	s_mov_b64 s[56:57], 0
                                        ; implicit-def: $sgpr58_sgpr59
                                        ; implicit-def: $sgpr60_sgpr61
	s_branch .LBB10_894
.LBB10_893:                             ;   in Loop: Header=BB10_894 Depth=3
	s_or_b64 exec, exec, s[64:65]
	s_and_b64 vcc, exec, vcc
	s_or_b64 s[56:57], vcc, s[56:57]
	s_andn2_b64 vcc, s[58:59], exec
	s_and_b64 s[58:59], s[60:61], exec
	s_or_b64 s[58:59], vcc, s[58:59]
	s_andn2_b64 exec, exec, s[56:57]
	s_cbranch_execz .LBB10_916
.LBB10_894:                             ;   Parent Loop BB10_81 Depth=1
                                        ;     Parent Loop BB10_808 Depth=2
                                        ; =>    This Inner Loop Header: Depth=3
	s_add_i32 s67, s67, 1
	s_cmpk_lg_i32 s67, 0x2710
	s_cselect_b64 s[62:63], -1, 0
	s_and_b64 vcc, exec, s[62:63]
                                        ; implicit-def: $sgpr64_sgpr65
	s_cbranch_vccnz .LBB10_896
; %bb.895:                              ;   in Loop: Header=BB10_894 Depth=3
	s_trap 2
	ds_read_b64 v[4:5], v0
	s_andn2_b64 s[62:63], s[62:63], exec
	s_mov_b32 s67, 0
	s_mov_b64 s[64:65], -1
	s_waitcnt lgkmcnt(0)
	flat_load_dword v0, v[4:5] glc
	s_waitcnt vmcnt(0) lgkmcnt(0)
	buffer_invl2
	buffer_wbinvl1_vol
	v_cmp_eq_u32_e32 vcc, 0, v0
	s_and_b64 vcc, vcc, exec
	s_or_b64 s[62:63], s[62:63], vcc
.LBB10_896:                             ;   in Loop: Header=BB10_894 Depth=3
	s_andn2_b64 s[60:61], s[60:61], exec
	s_and_b64 s[64:65], s[64:65], exec
	s_mov_b64 vcc, -1
	s_or_b64 s[60:61], s[60:61], s[64:65]
	s_and_saveexec_b64 s[64:65], s[62:63]
	s_cbranch_execz .LBB10_893
; %bb.897:                              ;   in Loop: Header=BB10_894 Depth=3
	s_sleep 1
	s_trap 2
	ds_read_b64 v[4:5], v0
	s_andn2_b64 s[60:61], s[60:61], exec
	s_waitcnt lgkmcnt(0)
	v_cmp_ge_u64_e32 vcc, v[4:5], v[34:35]
	s_orn2_b64 vcc, vcc, exec
	s_branch .LBB10_893
.LBB10_898:                             ;   in Loop: Header=BB10_808 Depth=2
	v_ashrrev_i32_e32 v0, 31, v23
	v_lshrrev_b32_e32 v0, 21, v0
	v_add_u32_e32 v0, v23, v0
	v_ashrrev_i32_e32 v1, 11, v0
	v_sub_u32_e32 v17, v1, v53
	v_cmp_lt_i32_e32 vcc, 0, v17
	s_and_saveexec_b64 s[26:27], vcc
	s_cbranch_execz .LBB10_902
; %bb.899:                              ;   in Loop: Header=BB10_808 Depth=2
	s_trap 2
	ds_read_b64 v[4:5], v0
	v_accvgpr_read_b32 v14, a32
	s_mov_b64 s[36:37], 0
	v_accvgpr_read_b32 v15, a33
.LBB10_900:                             ;   Parent Loop BB10_81 Depth=1
                                        ;     Parent Loop BB10_808 Depth=2
                                        ; =>    This Inner Loop Header: Depth=3
	s_waitcnt lgkmcnt(0)
	v_add_co_u32_e32 v18, vcc, v4, v14
	v_addc_co_u32_e32 v19, vcc, v5, v15, vcc
	global_load_dwordx4 v[44:47], v[18:19], off glc slc
	global_load_dwordx4 v[58:61], v[18:19], off offset:1024 glc slc
	v_add_co_u32_e32 v14, vcc, v14, v20
	v_sub_u32_e32 v17, v17, v50
	v_addc_co_u32_e32 v15, vcc, v15, v21, vcc
	v_cmp_gt_i32_e32 vcc, 1, v17
	s_or_b64 s[36:37], vcc, s[36:37]
	s_waitcnt vmcnt(0)
	global_store_dwordx4 v[18:19], v[44:47], off glc slc
	s_waitcnt vmcnt(1)
	global_store_dwordx4 v[18:19], v[58:61], off offset:1024 glc slc
	s_andn2_b64 exec, exec, s[36:37]
	s_cbranch_execnz .LBB10_900
; %bb.901:                              ;   in Loop: Header=BB10_808 Depth=2
	s_or_b64 exec, exec, s[36:37]
	v_accvgpr_read_b32 v61, a35
	v_accvgpr_read_b32 v60, a34
.LBB10_902:                             ;   in Loop: Header=BB10_808 Depth=2
	s_or_b64 exec, exec, s[26:27]
	v_lshlrev_b32_e32 v16, 11, v1
	v_cmp_ne_u32_e32 vcc, v23, v16
	s_mov_b64 s[52:53], 0
	v_mov_b32_e32 v10, 0
                                        ; implicit-def: $vgpr1
                                        ; implicit-def: $vgpr18
                                        ; implicit-def: $vgpr14
	s_and_saveexec_b64 s[36:37], vcc
	s_cbranch_execz .LBB10_910
; %bb.903:                              ;   in Loop: Header=BB10_808 Depth=2
	v_lshlrev_b32_e32 v1, 6, v17
	v_accvgpr_read_b32 v2, a28
	v_sub_u32_e32 v1, v2, v1
	v_ashrrev_i32_e32 v4, 31, v1
	v_lshrrev_b32_e32 v4, 26, v4
	v_add_u32_e32 v4, v1, v4
	v_sub_u32_e32 v0, v23, v16
	v_ashrrev_i32_e32 v5, 6, v4
	v_and_b32_e32 v4, 0xffffffc0, v4
	v_sub_u32_e32 v17, v1, v4
	v_ashrrev_i32_e32 v4, 31, v0
	v_lshrrev_b32_e32 v4, 22, v4
	v_add_u32_e32 v4, v0, v4
	v_and_b32_e32 v19, 0xfffffc00, v4
	v_lshlrev_b32_e32 v1, 4, v17
	v_sub_u32_e32 v48, v0, v19
	v_lshl_add_u32 v10, v5, 10, v1
	v_ashrrev_i32_e32 v14, 10, v4
	v_cmp_lt_i32_e32 vcc, 15, v48
	v_sub_u32_e32 v1, v0, v10
	v_addc_co_u32_e64 v0, s[26:27], 0, v14, vcc
	v_sub_u32_e32 v31, v0, v5
	v_cmp_lt_i32_e64 s[26:27], 15, v1
	s_and_saveexec_b64 s[52:53], s[26:27]
	s_cbranch_execz .LBB10_907
; %bb.904:                              ;   in Loop: Header=BB10_808 Depth=2
	s_trap 2
	ds_read_b64 v[4:5], v0
	v_add_u32_e32 v14, v10, v16
	v_ashrrev_i32_e32 v15, 31, v14
	s_mov_b64 s[54:55], 0
.LBB10_905:                             ;   Parent Loop BB10_81 Depth=1
                                        ;     Parent Loop BB10_808 Depth=2
                                        ; =>    This Inner Loop Header: Depth=3
	s_waitcnt lgkmcnt(0)
	v_add_co_u32_e64 v58, s[26:27], v4, v14
	v_addc_co_u32_e64 v59, s[26:27], v5, v15, s[26:27]
	global_load_dwordx4 v[44:47], v[58:59], off glc slc
	v_add_co_u32_e64 v14, s[26:27], v14, v11
	v_sub_u32_e32 v1, v1, v51
	v_addc_co_u32_e64 v15, s[26:27], v15, v6, s[26:27]
	v_cmp_gt_i32_e64 s[26:27], 16, v1
	v_sub_u32_e32 v31, v31, v50
	s_or_b64 s[54:55], s[26:27], s[54:55]
	s_waitcnt vmcnt(0)
	global_store_dwordx4 v[58:59], v[44:47], off glc slc
	s_andn2_b64 exec, exec, s[54:55]
	s_cbranch_execnz .LBB10_905
; %bb.906:                              ;   in Loop: Header=BB10_808 Depth=2
	s_or_b64 exec, exec, s[54:55]
.LBB10_907:                             ;   in Loop: Header=BB10_808 Depth=2
	s_or_b64 exec, exec, s[52:53]
	v_and_b32_e32 v4, 15, v23
	v_cndmask_b32_e32 v1, v48, v4, vcc
	v_cmp_ne_u32_e64 s[26:27], 0, v1
	s_mov_b64 s[52:53], 0
	v_mov_b32_e32 v10, 0
                                        ; implicit-def: $vgpr18
                                        ; implicit-def: $vgpr14
	s_and_saveexec_b64 s[54:55], s[26:27]
	s_cbranch_execz .LBB10_909
; %bb.908:                              ;   in Loop: Header=BB10_808 Depth=2
	v_sub_u32_e32 v0, v48, v4
	v_cndmask_b32_e32 v0, 0, v0, vcc
	v_cmp_lt_i32_e32 vcc, 0, v31
	v_add3_u32 v10, v19, v16, v0
	v_cndmask_b32_e32 v0, 0, v50, vcc
	v_sub_u32_e32 v0, v0, v31
	v_lshl_add_u32 v18, v0, 6, v17
	v_ashrrev_i32_e32 v0, 31, v18
	v_lshrrev_b32_e32 v0, 26, v0
	v_add_u32_e32 v0, v18, v0
	s_mov_b64 s[52:53], exec
	v_ashrrev_i32_e32 v14, 6, v0
.LBB10_909:                             ;   in Loop: Header=BB10_808 Depth=2
	s_or_b64 exec, exec, s[54:55]
	s_and_b64 s[52:53], s[52:53], exec
.LBB10_910:                             ;   in Loop: Header=BB10_808 Depth=2
	s_or_b64 exec, exec, s[36:37]
	s_and_saveexec_b64 s[26:27], s[52:53]
	s_cbranch_execnz .LBB10_877
.LBB10_911:                             ;   in Loop: Header=BB10_808 Depth=2
	s_or_b64 exec, exec, s[26:27]
	s_and_saveexec_b64 s[26:27], s[10:11]
	s_cbranch_execnz .LBB10_887
.LBB10_912:                             ;   in Loop: Header=BB10_808 Depth=2
	s_or_b64 exec, exec, s[26:27]
	s_and_saveexec_b64 s[26:27], s[24:25]
	s_xor_b64 s[36:37], exec, s[26:27]
	s_cbranch_execz .LBB10_923
.LBB10_913:                             ;   in Loop: Header=BB10_808 Depth=2
	v_and_b32_e32 v0, 16, v62
	v_cmp_lt_i32_e32 vcc, 0, v23
	v_cmp_ne_u32_e64 s[26:27], 0, v0
	s_and_b64 vcc, s[26:27], vcc
	s_and_saveexec_b64 s[26:27], vcc
	s_cbranch_execz .LBB10_915
; %bb.914:                              ;   in Loop: Header=BB10_808 Depth=2
	s_waitcnt vmcnt(0) lgkmcnt(0)
	buffer_wbinvl1_vol
.LBB10_915:                             ;   in Loop: Header=BB10_808 Depth=2
	s_or_b64 exec, exec, s[26:27]
	s_andn2_saveexec_b64 s[26:27], s[36:37]
	s_cbranch_execz .LBB10_942
	s_branch .LBB10_924
.LBB10_916:                             ;   in Loop: Header=BB10_808 Depth=2
	s_or_b64 exec, exec, s[56:57]
	s_and_saveexec_b64 vcc, s[58:59]
	s_xor_b64 vcc, exec, vcc
	s_cbranch_execz .LBB10_918
; %bb.917:                              ;   in Loop: Header=BB10_808 Depth=2
	ds_write_b32 v0, v42
	s_trap 2
.LBB10_918:                             ;   in Loop: Header=BB10_808 Depth=2
	s_or_b64 exec, exec, s[54:55]
	;;#ASMSTART
	s_wakeup
	;;#ASMEND
.LBB10_919:                             ;   in Loop: Header=BB10_808 Depth=2
	s_or_b64 exec, exec, s[52:53]
.LBB10_920:                             ;   in Loop: Header=BB10_808 Depth=2
	s_andn2_saveexec_b64 vcc, s[36:37]
	s_cbranch_execz .LBB10_922
; %bb.921:                              ;   in Loop: Header=BB10_808 Depth=2
	s_waitcnt vmcnt(0) lgkmcnt(0)
	buffer_wbinvl1_vol
	s_barrier
.LBB10_922:                             ;   in Loop: Header=BB10_808 Depth=2
	s_or_b64 exec, exec, vcc
	s_or_b64 exec, exec, s[26:27]
	s_and_saveexec_b64 s[26:27], s[24:25]
	s_xor_b64 s[36:37], exec, s[26:27]
	s_cbranch_execnz .LBB10_913
.LBB10_923:                             ;   in Loop: Header=BB10_808 Depth=2
	s_andn2_saveexec_b64 s[26:27], s[36:37]
	s_cbranch_execz .LBB10_942
.LBB10_924:                             ;   in Loop: Header=BB10_808 Depth=2
	s_and_saveexec_b64 vcc, s[46:47]
	s_xor_b64 s[36:37], exec, vcc
	s_cbranch_execz .LBB10_939
; %bb.925:                              ;   in Loop: Header=BB10_808 Depth=2
	s_and_saveexec_b64 s[52:53], s[16:17]
	s_cbranch_execz .LBB10_938
; %bb.926:                              ;   in Loop: Header=BB10_808 Depth=2
	s_mov_b64 s[56:57], exec
	v_mbcnt_lo_u32_b32 v0, s56, 0
	v_mbcnt_hi_u32_b32 v0, s57, v0
	v_cmp_eq_u32_e32 vcc, 0, v0
	;;#ASMSTART
	s_waitcnt lgkmcnt(0) vmcnt(0)
	;;#ASMEND
	s_and_saveexec_b64 s[54:55], vcc
	s_cbranch_execz .LBB10_928
; %bb.927:                              ;   in Loop: Header=BB10_808 Depth=2
	s_bcnt1_i32_b64 vcc_lo, s[56:57]
	v_mov_b32_e32 v48, vcc_lo
	ds_add_u64 v0, v[48:49]
	s_trap 2
.LBB10_928:                             ;   in Loop: Header=BB10_808 Depth=2
	s_or_b64 exec, exec, s[54:55]
	s_trap 2
	ds_read_b64 v[4:5], v0
	v_add_co_u32_e32 v34, vcc, v34, v50
	v_addc_co_u32_e32 v35, vcc, 0, v35, vcc
	s_waitcnt lgkmcnt(0)
	v_cmp_lt_u64_e32 vcc, v[4:5], v[34:35]
	s_and_saveexec_b64 s[54:55], vcc
	s_cbranch_execz .LBB10_937
; %bb.929:                              ;   in Loop: Header=BB10_808 Depth=2
	s_mov_b32 s67, 0
	s_mov_b64 s[56:57], 0
                                        ; implicit-def: $sgpr58_sgpr59
                                        ; implicit-def: $sgpr60_sgpr61
	s_branch .LBB10_931
.LBB10_930:                             ;   in Loop: Header=BB10_931 Depth=3
	s_or_b64 exec, exec, s[64:65]
	s_and_b64 vcc, exec, vcc
	s_or_b64 s[56:57], vcc, s[56:57]
	s_andn2_b64 vcc, s[58:59], exec
	s_and_b64 s[58:59], s[60:61], exec
	s_or_b64 s[58:59], vcc, s[58:59]
	s_andn2_b64 exec, exec, s[56:57]
	s_cbranch_execz .LBB10_935
.LBB10_931:                             ;   Parent Loop BB10_81 Depth=1
                                        ;     Parent Loop BB10_808 Depth=2
                                        ; =>    This Inner Loop Header: Depth=3
	s_add_i32 s67, s67, 1
	s_cmpk_lg_i32 s67, 0x2710
	s_cselect_b64 s[62:63], -1, 0
	s_and_b64 vcc, exec, s[62:63]
                                        ; implicit-def: $sgpr64_sgpr65
	s_cbranch_vccnz .LBB10_933
; %bb.932:                              ;   in Loop: Header=BB10_931 Depth=3
	s_trap 2
	ds_read_b64 v[4:5], v0
	s_andn2_b64 s[62:63], s[62:63], exec
	s_mov_b32 s67, 0
	s_mov_b64 s[64:65], -1
	s_waitcnt vmcnt(0) lgkmcnt(0)
	flat_load_dword v0, v[4:5] glc
	s_waitcnt vmcnt(0) lgkmcnt(0)
	buffer_invl2
	buffer_wbinvl1_vol
	v_cmp_eq_u32_e32 vcc, 0, v0
	s_and_b64 vcc, vcc, exec
	s_or_b64 s[62:63], s[62:63], vcc
.LBB10_933:                             ;   in Loop: Header=BB10_931 Depth=3
	s_andn2_b64 s[60:61], s[60:61], exec
	s_and_b64 s[64:65], s[64:65], exec
	s_mov_b64 vcc, -1
	s_or_b64 s[60:61], s[60:61], s[64:65]
	s_and_saveexec_b64 s[64:65], s[62:63]
	s_cbranch_execz .LBB10_930
; %bb.934:                              ;   in Loop: Header=BB10_931 Depth=3
	s_sleep 1
	s_trap 2
	ds_read_b64 v[4:5], v0
	s_andn2_b64 s[60:61], s[60:61], exec
	s_waitcnt lgkmcnt(0)
	v_cmp_ge_u64_e32 vcc, v[4:5], v[34:35]
	s_orn2_b64 vcc, vcc, exec
	s_branch .LBB10_930
.LBB10_935:                             ;   in Loop: Header=BB10_808 Depth=2
	s_or_b64 exec, exec, s[56:57]
	s_and_saveexec_b64 vcc, s[58:59]
	s_xor_b64 vcc, exec, vcc
	s_cbranch_execz .LBB10_937
; %bb.936:                              ;   in Loop: Header=BB10_808 Depth=2
	ds_write_b32 v0, v42
	s_trap 2
.LBB10_937:                             ;   in Loop: Header=BB10_808 Depth=2
	s_or_b64 exec, exec, s[54:55]
	;;#ASMSTART
	s_wakeup
	;;#ASMEND
.LBB10_938:                             ;   in Loop: Header=BB10_808 Depth=2
	s_or_b64 exec, exec, s[52:53]
.LBB10_939:                             ;   in Loop: Header=BB10_808 Depth=2
	s_andn2_saveexec_b64 vcc, s[36:37]
	s_cbranch_execz .LBB10_941
; %bb.940:                              ;   in Loop: Header=BB10_808 Depth=2
	;;#ASMSTART
	s_waitcnt lgkmcnt(0) vmcnt(0)
	;;#ASMEND
	s_barrier
.LBB10_941:                             ;   in Loop: Header=BB10_808 Depth=2
	s_or_b64 exec, exec, vcc
.LBB10_942:                             ;   in Loop: Header=BB10_808 Depth=2
	s_or_b64 exec, exec, s[26:27]
	v_and_b32_e32 v0, 32, v62
	v_cmp_ne_u32_e32 vcc, 0, v0
	s_and_saveexec_b64 s[26:27], vcc
	s_cbranch_execz .LBB10_807
; %bb.943:                              ;   in Loop: Header=BB10_808 Depth=2
	v_add_co_u32_e32 v26, vcc, 2, v26
	v_addc_co_u32_e32 v27, vcc, 0, v27, vcc
	flat_store_dwordx2 v[28:29], v[26:27]
	s_branch .LBB10_807
.LBB10_944:                             ;   in Loop: Header=BB10_81 Depth=1
	s_or_b64 exec, exec, s[30:31]
.LBB10_945:                             ;   in Loop: Header=BB10_81 Depth=1
	s_or_b64 exec, exec, s[28:29]
	v_cmp_gt_i32_e32 vcc, 2, v1
	s_and_saveexec_b64 s[28:29], vcc
	s_cbranch_execz .LBB10_80
; %bb.946:                              ;   in Loop: Header=BB10_81 Depth=1
	v_cmp_eq_u32_e64 s[26:27], 0, v1
	s_mov_b64 s[30:31], 0
	s_branch .LBB10_948
.LBB10_947:                             ;   in Loop: Header=BB10_948 Depth=2
	s_or_b64 exec, exec, s[26:27]
	v_add_u32_e32 v22, v56, v22
	s_mov_b64 s[26:27], 0
	s_andn2_b64 exec, exec, s[30:31]
	s_cbranch_execz .LBB10_79
.LBB10_948:                             ;   Parent Loop BB10_81 Depth=1
                                        ; =>  This Loop Header: Depth=2
                                        ;       Child Loop BB10_954 Depth 3
                                        ;       Child Loop BB10_978 Depth 3
	;; [unrolled: 1-line block ×3, first 2 shown]
	v_and_b32_e32 v0, 4, v62
	s_mov_b64 s[36:37], -1
	v_cmp_ne_u32_e32 vcc, 0, v0
	s_and_saveexec_b64 s[34:35], vcc
	s_cbranch_execz .LBB10_960
; %bb.949:                              ;   in Loop: Header=BB10_948 Depth=2
	v_add_co_u32_e32 v2, vcc, 2, v26
	v_addc_co_u32_e32 v3, vcc, 0, v27, vcc
	v_cmp_lt_u64_e32 vcc, v[38:39], v[2:3]
	v_mov_b32_e32 v1, 1
	s_and_saveexec_b64 s[36:37], vcc
	s_cbranch_execz .LBB10_959
; %bb.950:                              ;   in Loop: Header=BB10_948 Depth=2
	s_mov_b64 s[52:53], 0
	v_mov_b32_e32 v1, 0
                                        ; implicit-def: $sgpr54_sgpr55
	s_branch .LBB10_954
.LBB10_951:                             ;   in Loop: Header=BB10_954 Depth=3
	s_or_b64 exec, exec, s[62:63]
	v_mov_b32_e32 v4, 0
	s_orn2_b64 s[60:61], s[60:61], exec
.LBB10_952:                             ;   in Loop: Header=BB10_954 Depth=3
	s_or_b64 exec, exec, s[58:59]
	s_andn2_b64 vcc, s[54:55], exec
	s_and_b64 s[54:55], s[60:61], exec
	s_or_b64 s[54:55], vcc, s[54:55]
	v_mov_b32_e32 v1, v4
.LBB10_953:                             ;   in Loop: Header=BB10_954 Depth=3
	s_or_b64 exec, exec, s[56:57]
	s_waitcnt vmcnt(0) lgkmcnt(0)
	v_cmp_ge_u64_e32 vcc, v[38:39], v[2:3]
	s_xor_b64 s[56:57], s[54:55], -1
	s_or_b64 vcc, s[56:57], vcc
	s_and_b64 vcc, exec, vcc
	s_or_b64 s[52:53], vcc, s[52:53]
	s_andn2_b64 exec, exec, s[52:53]
	s_cbranch_execz .LBB10_958
.LBB10_954:                             ;   Parent Loop BB10_81 Depth=1
                                        ;     Parent Loop BB10_948 Depth=2
                                        ; =>    This Inner Loop Header: Depth=3
	s_sleep 1
	flat_load_dwordx2 v[38:39], v[28:29] glc
	v_and_b32_e32 v0, 64, v62
	v_cmp_eq_u32_e32 vcc, 0, v0
	s_andn2_b64 s[54:55], s[54:55], exec
	s_and_saveexec_b64 s[56:57], vcc
	s_cbranch_execz .LBB10_953
; %bb.955:                              ;   in Loop: Header=BB10_954 Depth=3
	v_add_u32_e32 v4, 1, v1
	v_cmp_lt_i32_e32 vcc, s72, v1
	s_mov_b64 s[60:61], -1
	s_and_saveexec_b64 s[58:59], vcc
	s_cbranch_execz .LBB10_952
; %bb.956:                              ;   in Loop: Header=BB10_954 Depth=3
	s_trap 2
	ds_read_b64 v[4:5], v0
	s_waitcnt vmcnt(0) lgkmcnt(0)
	flat_load_dword v1, v[4:5] glc
	s_waitcnt vmcnt(0) lgkmcnt(0)
	buffer_invl2
	buffer_wbinvl1_vol
	v_cmp_ne_u32_e32 vcc, 0, v1
	s_and_saveexec_b64 s[62:63], vcc
	s_cbranch_execz .LBB10_951
; %bb.957:                              ;   in Loop: Header=BB10_954 Depth=3
	v_or_b32_e32 v62, 64, v62
	s_xor_b64 s[60:61], exec, -1
	ds_write_b32 v0, v1
	s_trap 2
	s_branch .LBB10_951
.LBB10_958:                             ;   in Loop: Header=BB10_948 Depth=2
	s_or_b64 exec, exec, s[52:53]
	v_and_b32_e32 v1, 4, v62
.LBB10_959:                             ;   in Loop: Header=BB10_948 Depth=2
	s_or_b64 exec, exec, s[36:37]
	v_cmp_eq_u32_e32 vcc, 0, v1
	s_orn2_b64 s[36:37], vcc, exec
	;;#ASMSTART
	s_wakeup
	;;#ASMEND
.LBB10_960:                             ;   in Loop: Header=BB10_948 Depth=2
	s_or_b64 exec, exec, s[34:35]
	s_xor_b64 s[26:27], s[26:27], -1
	s_and_b64 s[26:27], exec, s[26:27]
	s_or_b64 s[30:31], s[26:27], s[30:31]
	s_xor_b64 s[26:27], s[36:37], -1
	s_and_saveexec_b64 s[34:35], s[26:27]
	s_cbranch_execz .LBB10_970
; %bb.961:                              ;   in Loop: Header=BB10_948 Depth=2
	v_and_b32_e32 v0, 0x100, v62
	v_cmp_ne_u32_e32 vcc, 0, v0
	v_and_b32_e32 v1, 7, v26
	s_mov_b64 s[26:27], -1
                                        ; implicit-def: $vgpr2_vgpr3
	s_and_saveexec_b64 s[36:37], vcc
	s_cbranch_execz .LBB10_965
; %bb.962:                              ;   in Loop: Header=BB10_948 Depth=2
	v_mad_u64_u32 v[4:5], s[26:27], v1, 24, v[12:13]
	flat_load_dword v0, v[4:5]
                                        ; implicit-def: $vgpr2_vgpr3
	s_waitcnt vmcnt(0) lgkmcnt(0)
	v_cmp_ne_u32_e32 vcc, 1, v0
	v_cmp_eq_u32_e64 s[26:27], 1, v0
	s_and_saveexec_b64 s[52:53], s[26:27]
	s_cbranch_execz .LBB10_964
; %bb.963:                              ;   in Loop: Header=BB10_948 Depth=2
	flat_load_dword v2, v[4:5] offset:4 glc
	s_waitcnt vmcnt(0) lgkmcnt(0)
	v_ashrrev_i32_e32 v3, 31, v2
.LBB10_964:                             ;   in Loop: Header=BB10_948 Depth=2
	s_or_b64 exec, exec, s[52:53]
	s_orn2_b64 s[26:27], vcc, exec
.LBB10_965:                             ;   in Loop: Header=BB10_948 Depth=2
	s_or_b64 exec, exec, s[36:37]
	s_and_saveexec_b64 vcc, s[26:27]
; %bb.966:                              ;   in Loop: Header=BB10_948 Depth=2
	v_mad_i64_i32 v[2:3], s[26:27], v1, v30, 0
; %bb.967:                              ;   in Loop: Header=BB10_948 Depth=2
	s_or_b64 exec, exec, vcc
	v_add_co_u32_e32 v2, vcc, v32, v2
	v_addc_co_u32_e32 v3, vcc, v33, v3, vcc
	ds_write_b64 v0, v[2:3] offset:720
	v_and_b32_e32 v0, 0x2000, v62
	v_cmp_ne_u32_e32 vcc, 0, v0
	s_and_saveexec_b64 s[26:27], vcc
	s_cbranch_execz .LBB10_969
; %bb.968:                              ;   in Loop: Header=BB10_948 Depth=2
	ds_read_b64 v[2:3], v0 offset:584
	s_waitcnt lgkmcnt(0)
	v_add_co_u32_e32 v2, vcc, 1, v2
	v_addc_co_u32_e32 v3, vcc, 0, v3, vcc
	ds_write_b64 v0, v[2:3] offset:584
.LBB10_969:                             ;   in Loop: Header=BB10_948 Depth=2
	s_or_b64 exec, exec, s[26:27]
	v_add_co_u32_e32 v26, vcc, 2, v26
	v_addc_co_u32_e32 v27, vcc, 0, v27, vcc
.LBB10_970:                             ;   in Loop: Header=BB10_948 Depth=2
	s_or_b64 exec, exec, s[34:35]
	s_and_saveexec_b64 s[26:27], s[10:11]
	s_cbranch_execz .LBB10_989
; %bb.971:                              ;   in Loop: Header=BB10_948 Depth=2
	s_and_saveexec_b64 vcc, s[46:47]
	s_xor_b64 s[34:35], exec, vcc
	s_cbranch_execz .LBB10_986
; %bb.972:                              ;   in Loop: Header=BB10_948 Depth=2
	s_and_saveexec_b64 s[36:37], s[16:17]
	s_cbranch_execz .LBB10_985
; %bb.973:                              ;   in Loop: Header=BB10_948 Depth=2
	s_mov_b64 s[54:55], exec
	v_mbcnt_lo_u32_b32 v0, s54, 0
	v_mbcnt_hi_u32_b32 v0, s55, v0
	v_cmp_eq_u32_e32 vcc, 0, v0
	s_waitcnt vmcnt(0) lgkmcnt(0)
	buffer_wbinvl1_vol
	s_and_saveexec_b64 s[52:53], vcc
	s_cbranch_execz .LBB10_975
; %bb.974:                              ;   in Loop: Header=BB10_948 Depth=2
	s_bcnt1_i32_b64 vcc_lo, s[54:55]
	v_mov_b32_e32 v48, vcc_lo
	ds_add_u64 v0, v[48:49]
	s_trap 2
.LBB10_975:                             ;   in Loop: Header=BB10_948 Depth=2
	s_or_b64 exec, exec, s[52:53]
	s_trap 2
	ds_read_b64 v[2:3], v0
	v_add_co_u32_e32 v34, vcc, v34, v50
	v_addc_co_u32_e32 v35, vcc, 0, v35, vcc
	s_waitcnt lgkmcnt(0)
	v_cmp_lt_u64_e32 vcc, v[2:3], v[34:35]
	s_and_saveexec_b64 s[52:53], vcc
	s_cbranch_execz .LBB10_984
; %bb.976:                              ;   in Loop: Header=BB10_948 Depth=2
	s_mov_b32 s64, 0
	s_mov_b64 s[54:55], 0
                                        ; implicit-def: $sgpr56_sgpr57
                                        ; implicit-def: $sgpr58_sgpr59
	s_branch .LBB10_978
.LBB10_977:                             ;   in Loop: Header=BB10_978 Depth=3
	s_or_b64 exec, exec, s[62:63]
	s_and_b64 vcc, exec, vcc
	s_or_b64 s[54:55], vcc, s[54:55]
	s_andn2_b64 vcc, s[56:57], exec
	s_and_b64 s[56:57], s[58:59], exec
	s_or_b64 s[56:57], vcc, s[56:57]
	s_andn2_b64 exec, exec, s[54:55]
	s_cbranch_execz .LBB10_982
.LBB10_978:                             ;   Parent Loop BB10_81 Depth=1
                                        ;     Parent Loop BB10_948 Depth=2
                                        ; =>    This Inner Loop Header: Depth=3
	s_add_i32 s64, s64, 1
	s_cmpk_lg_i32 s64, 0x2710
	s_cselect_b64 s[60:61], -1, 0
	s_and_b64 vcc, exec, s[60:61]
                                        ; implicit-def: $sgpr62_sgpr63
	s_cbranch_vccnz .LBB10_980
; %bb.979:                              ;   in Loop: Header=BB10_978 Depth=3
	s_trap 2
	ds_read_b64 v[2:3], v0
	s_andn2_b64 s[60:61], s[60:61], exec
	s_mov_b32 s64, 0
	s_mov_b64 s[62:63], -1
	s_waitcnt lgkmcnt(0)
	flat_load_dword v0, v[2:3] glc
	s_waitcnt vmcnt(0) lgkmcnt(0)
	buffer_invl2
	buffer_wbinvl1_vol
	v_cmp_eq_u32_e32 vcc, 0, v0
	s_and_b64 vcc, vcc, exec
	s_or_b64 s[60:61], s[60:61], vcc
.LBB10_980:                             ;   in Loop: Header=BB10_978 Depth=3
	s_andn2_b64 s[58:59], s[58:59], exec
	s_and_b64 s[62:63], s[62:63], exec
	s_mov_b64 vcc, -1
	s_or_b64 s[58:59], s[58:59], s[62:63]
	s_and_saveexec_b64 s[62:63], s[60:61]
	s_cbranch_execz .LBB10_977
; %bb.981:                              ;   in Loop: Header=BB10_978 Depth=3
	s_sleep 1
	s_trap 2
	ds_read_b64 v[2:3], v0
	s_andn2_b64 s[58:59], s[58:59], exec
	s_waitcnt lgkmcnt(0)
	v_cmp_ge_u64_e32 vcc, v[2:3], v[34:35]
	s_orn2_b64 vcc, vcc, exec
	s_branch .LBB10_977
.LBB10_982:                             ;   in Loop: Header=BB10_948 Depth=2
	s_or_b64 exec, exec, s[54:55]
	s_and_saveexec_b64 vcc, s[56:57]
	s_xor_b64 vcc, exec, vcc
	s_cbranch_execz .LBB10_984
; %bb.983:                              ;   in Loop: Header=BB10_948 Depth=2
	ds_write_b32 v0, v42
	s_trap 2
.LBB10_984:                             ;   in Loop: Header=BB10_948 Depth=2
	s_or_b64 exec, exec, s[52:53]
	;;#ASMSTART
	s_wakeup
	;;#ASMEND
.LBB10_985:                             ;   in Loop: Header=BB10_948 Depth=2
	s_or_b64 exec, exec, s[36:37]
.LBB10_986:                             ;   in Loop: Header=BB10_948 Depth=2
	s_andn2_saveexec_b64 vcc, s[34:35]
	s_cbranch_execz .LBB10_988
; %bb.987:                              ;   in Loop: Header=BB10_948 Depth=2
	s_waitcnt vmcnt(0) lgkmcnt(0)
	buffer_wbinvl1_vol
	s_barrier
.LBB10_988:                             ;   in Loop: Header=BB10_948 Depth=2
	s_or_b64 exec, exec, vcc
.LBB10_989:                             ;   in Loop: Header=BB10_948 Depth=2
	s_or_b64 exec, exec, s[26:27]
	v_sub_u32_e32 v0, v7, v22
	v_min_i32_e32 v56, v56, v0
	s_and_saveexec_b64 s[26:27], s[24:25]
	s_xor_b64 s[26:27], exec, s[26:27]
	s_cbranch_execz .LBB10_993
; %bb.990:                              ;   in Loop: Header=BB10_948 Depth=2
	s_trap 2
	ds_read_b32 v0, v0
	v_cmp_lt_i32_e32 vcc, 0, v56
	v_and_b32_e32 v1, 16, v62
	s_waitcnt lgkmcnt(0)
	v_readfirstlane_b32 s34, v0
	s_cmp_eq_u32 s34, 0
	s_cselect_b64 s[34:35], -1, 0
	s_and_b64 s[34:35], vcc, s[34:35]
	v_cmp_ne_u32_e32 vcc, 0, v1
	s_and_b64 s[34:35], vcc, s[34:35]
	s_and_saveexec_b64 vcc, s[34:35]
	s_cbranch_execz .LBB10_992
; %bb.991:                              ;   in Loop: Header=BB10_948 Depth=2
	s_waitcnt vmcnt(0)
	buffer_wbinvl1_vol
.LBB10_992:                             ;   in Loop: Header=BB10_948 Depth=2
	s_or_b64 exec, exec, vcc
.LBB10_993:                             ;   in Loop: Header=BB10_948 Depth=2
	s_andn2_saveexec_b64 s[26:27], s[26:27]
	s_cbranch_execz .LBB10_1012
; %bb.994:                              ;   in Loop: Header=BB10_948 Depth=2
	s_and_saveexec_b64 vcc, s[46:47]
	s_xor_b64 s[34:35], exec, vcc
	s_cbranch_execz .LBB10_1009
; %bb.995:                              ;   in Loop: Header=BB10_948 Depth=2
	s_and_saveexec_b64 s[36:37], s[16:17]
	s_cbranch_execz .LBB10_1008
; %bb.996:                              ;   in Loop: Header=BB10_948 Depth=2
	s_mov_b64 s[54:55], exec
	v_mbcnt_lo_u32_b32 v0, s54, 0
	v_mbcnt_hi_u32_b32 v0, s55, v0
	v_cmp_eq_u32_e32 vcc, 0, v0
	;;#ASMSTART
	s_waitcnt lgkmcnt(0) vmcnt(0)
	;;#ASMEND
	s_and_saveexec_b64 s[52:53], vcc
	s_cbranch_execz .LBB10_998
; %bb.997:                              ;   in Loop: Header=BB10_948 Depth=2
	s_bcnt1_i32_b64 vcc_lo, s[54:55]
	v_mov_b32_e32 v48, vcc_lo
	ds_add_u64 v0, v[48:49]
	s_trap 2
.LBB10_998:                             ;   in Loop: Header=BB10_948 Depth=2
	s_or_b64 exec, exec, s[52:53]
	s_trap 2
	ds_read_b64 v[2:3], v0
	v_add_co_u32_e32 v34, vcc, v34, v50
	v_addc_co_u32_e32 v35, vcc, 0, v35, vcc
	s_waitcnt lgkmcnt(0)
	v_cmp_lt_u64_e32 vcc, v[2:3], v[34:35]
	s_and_saveexec_b64 s[52:53], vcc
	s_cbranch_execz .LBB10_1007
; %bb.999:                              ;   in Loop: Header=BB10_948 Depth=2
	s_mov_b32 s64, 0
	s_mov_b64 s[54:55], 0
                                        ; implicit-def: $sgpr56_sgpr57
                                        ; implicit-def: $sgpr58_sgpr59
	s_branch .LBB10_1001
.LBB10_1000:                            ;   in Loop: Header=BB10_1001 Depth=3
	s_or_b64 exec, exec, s[62:63]
	s_and_b64 vcc, exec, vcc
	s_or_b64 s[54:55], vcc, s[54:55]
	s_andn2_b64 vcc, s[56:57], exec
	s_and_b64 s[56:57], s[58:59], exec
	s_or_b64 s[56:57], vcc, s[56:57]
	s_andn2_b64 exec, exec, s[54:55]
	s_cbranch_execz .LBB10_1005
.LBB10_1001:                            ;   Parent Loop BB10_81 Depth=1
                                        ;     Parent Loop BB10_948 Depth=2
                                        ; =>    This Inner Loop Header: Depth=3
	s_add_i32 s64, s64, 1
	s_cmpk_lg_i32 s64, 0x2710
	s_cselect_b64 s[60:61], -1, 0
	s_and_b64 vcc, exec, s[60:61]
                                        ; implicit-def: $sgpr62_sgpr63
	s_cbranch_vccnz .LBB10_1003
; %bb.1002:                             ;   in Loop: Header=BB10_1001 Depth=3
	s_trap 2
	ds_read_b64 v[2:3], v0
	s_andn2_b64 s[60:61], s[60:61], exec
	s_mov_b32 s64, 0
	s_mov_b64 s[62:63], -1
	s_waitcnt vmcnt(0) lgkmcnt(0)
	flat_load_dword v0, v[2:3] glc
	s_waitcnt vmcnt(0) lgkmcnt(0)
	buffer_invl2
	buffer_wbinvl1_vol
	v_cmp_eq_u32_e32 vcc, 0, v0
	s_and_b64 vcc, vcc, exec
	s_or_b64 s[60:61], s[60:61], vcc
.LBB10_1003:                            ;   in Loop: Header=BB10_1001 Depth=3
	s_andn2_b64 s[58:59], s[58:59], exec
	s_and_b64 s[62:63], s[62:63], exec
	s_mov_b64 vcc, -1
	s_or_b64 s[58:59], s[58:59], s[62:63]
	s_and_saveexec_b64 s[62:63], s[60:61]
	s_cbranch_execz .LBB10_1000
; %bb.1004:                             ;   in Loop: Header=BB10_1001 Depth=3
	s_sleep 1
	s_trap 2
	ds_read_b64 v[2:3], v0
	s_andn2_b64 s[58:59], s[58:59], exec
	s_waitcnt lgkmcnt(0)
	v_cmp_ge_u64_e32 vcc, v[2:3], v[34:35]
	s_orn2_b64 vcc, vcc, exec
	s_branch .LBB10_1000
.LBB10_1005:                            ;   in Loop: Header=BB10_948 Depth=2
	s_or_b64 exec, exec, s[54:55]
	s_and_saveexec_b64 vcc, s[56:57]
	s_xor_b64 vcc, exec, vcc
	s_cbranch_execz .LBB10_1007
; %bb.1006:                             ;   in Loop: Header=BB10_948 Depth=2
	ds_write_b32 v0, v42
	s_trap 2
.LBB10_1007:                            ;   in Loop: Header=BB10_948 Depth=2
	s_or_b64 exec, exec, s[52:53]
	;;#ASMSTART
	s_wakeup
	;;#ASMEND
.LBB10_1008:                            ;   in Loop: Header=BB10_948 Depth=2
	s_or_b64 exec, exec, s[36:37]
.LBB10_1009:                            ;   in Loop: Header=BB10_948 Depth=2
	s_andn2_saveexec_b64 vcc, s[34:35]
	s_cbranch_execz .LBB10_1011
; %bb.1010:                             ;   in Loop: Header=BB10_948 Depth=2
	;;#ASMSTART
	s_waitcnt lgkmcnt(0) vmcnt(0)
	;;#ASMEND
	s_barrier
.LBB10_1011:                            ;   in Loop: Header=BB10_948 Depth=2
	s_or_b64 exec, exec, vcc
.LBB10_1012:                            ;   in Loop: Header=BB10_948 Depth=2
	s_or_b64 exec, exec, s[26:27]
	v_and_b32_e32 v0, 32, v62
	v_cmp_ne_u32_e32 vcc, 0, v0
	s_and_saveexec_b64 s[26:27], vcc
	s_cbranch_execz .LBB10_947
; %bb.1013:                             ;   in Loop: Header=BB10_948 Depth=2
	v_add_co_u32_e32 v26, vcc, 2, v26
	v_addc_co_u32_e32 v27, vcc, 0, v27, vcc
	flat_store_dwordx2 v[28:29], v[26:27]
	s_branch .LBB10_947
.LBB10_1014:
	s_or_b64 exec, exec, s[44:45]
	v_accvgpr_read_b32 v21, a19
	v_accvgpr_read_b32 v24, a0
	;; [unrolled: 1-line block ×5, first 2 shown]
.LBB10_1015:
	s_or_b64 exec, exec, s[42:43]
	v_and_b32_e32 v0, 0x800, v62
	v_cmp_eq_u32_e32 vcc, 0, v0
	s_and_saveexec_b64 s[4:5], vcc
	s_cbranch_execz .LBB10_1050
; %bb.1016:
	v_and_b32_e32 v0, 48, v62
	v_cmp_ne_u32_e32 vcc, 0, v0
	s_and_saveexec_b64 s[6:7], vcc
	s_cbranch_execz .LBB10_1018
; %bb.1017:
	flat_store_dwordx2 v[20:21], v[26:27] offset:104
.LBB10_1018:
	s_or_b64 exec, exec, s[6:7]
	s_movk_i32 s6, 0x88
	v_and_b32_e32 v0, 0x88, v62
	v_cmp_eq_u32_e32 vcc, s6, v0
	s_and_saveexec_b64 s[6:7], vcc
	s_cbranch_execz .LBB10_1030
; %bb.1019:
	v_add_u32_e32 v0, 6, v26
	v_and_b32_e32 v0, 7, v0
	v_mad_u64_u32 v[0:1], s[10:11], v0, 24, v[12:13]
	v_add_co_u32_e32 v2, vcc, 8, v0
	v_addc_co_u32_e32 v3, vcc, 0, v1, vcc
	s_mov_b64 s[10:11], 0
	v_mov_b32_e32 v0, 0
	s_movk_i32 s24, 0x270e
                                        ; implicit-def: $sgpr12_sgpr13
	s_branch .LBB10_1024
.LBB10_1020:                            ;   in Loop: Header=BB10_1024 Depth=1
	s_or_b64 exec, exec, s[22:23]
	v_mov_b32_e32 v1, 0
	s_orn2_b64 s[20:21], s[20:21], exec
.LBB10_1021:                            ;   in Loop: Header=BB10_1024 Depth=1
	s_or_b64 exec, exec, s[18:19]
	s_and_b64 s[18:19], s[20:21], exec
	v_mov_b32_e32 v0, v1
.LBB10_1022:                            ;   in Loop: Header=BB10_1024 Depth=1
	s_or_b64 exec, exec, s[16:17]
	s_xor_b64 s[16:17], s[18:19], -1
	s_andn2_b64 s[12:13], s[12:13], exec
	s_and_b64 s[16:17], s[16:17], exec
	s_or_b64 s[12:13], s[12:13], s[16:17]
.LBB10_1023:                            ;   in Loop: Header=BB10_1024 Depth=1
	s_or_b64 exec, exec, s[14:15]
	s_and_b64 s[14:15], exec, s[12:13]
	s_or_b64 s[10:11], s[14:15], s[10:11]
	s_andn2_b64 exec, exec, s[10:11]
	s_cbranch_execz .LBB10_1029
.LBB10_1024:                            ; =>This Inner Loop Header: Depth=1
	flat_load_dwordx2 v[4:5], v[2:3] glc
	s_waitcnt vmcnt(0)
	s_or_b64 s[12:13], s[12:13], exec
	s_waitcnt lgkmcnt(0)
	v_cmp_ne_u64_e32 vcc, -1, v[4:5]
	s_and_saveexec_b64 s[14:15], vcc
	s_cbranch_execz .LBB10_1023
; %bb.1025:                             ;   in Loop: Header=BB10_1024 Depth=1
	v_and_b32_e32 v1, 64, v62
	v_cmp_eq_u32_e32 vcc, 0, v1
	s_mov_b64 s[18:19], 0
	s_and_saveexec_b64 s[16:17], vcc
	s_cbranch_execz .LBB10_1022
; %bb.1026:                             ;   in Loop: Header=BB10_1024 Depth=1
	v_add_u32_e32 v1, 1, v0
	v_cmp_lt_i32_e32 vcc, s24, v0
	s_mov_b64 s[20:21], -1
	s_and_saveexec_b64 s[18:19], vcc
	s_cbranch_execz .LBB10_1021
; %bb.1027:                             ;   in Loop: Header=BB10_1024 Depth=1
	s_trap 2
	ds_read_b64 v[0:1], v0
	s_waitcnt lgkmcnt(0)
	flat_load_dword v0, v[0:1] glc
	s_waitcnt vmcnt(0) lgkmcnt(0)
	buffer_invl2
	buffer_wbinvl1_vol
	v_cmp_ne_u32_e32 vcc, 0, v0
	s_and_saveexec_b64 s[22:23], vcc
	s_cbranch_execz .LBB10_1020
; %bb.1028:                             ;   in Loop: Header=BB10_1024 Depth=1
	v_or_b32_e32 v62, 64, v62
	s_xor_b64 s[20:21], exec, -1
	ds_write_b32 v0, v0
	s_trap 2
	s_branch .LBB10_1020
.LBB10_1029:
	s_or_b64 exec, exec, s[10:11]
.LBB10_1030:
	s_or_b64 exec, exec, s[6:7]
	v_and_b32_e32 v0, 0x2000, v62
	v_cmp_ne_u32_e32 vcc, 0, v0
	s_and_saveexec_b64 s[6:7], vcc
	s_cbranch_execz .LBB10_1032
; %bb.1031:
	s_trap 2
	ds_read_b64 v[0:1], v0
	v_accvgpr_read_b32 v2, a16
	v_accvgpr_read_b32 v3, a17
	s_waitcnt lgkmcnt(0)
	flat_store_dwordx2 v[2:3], v[0:1] offset:16
.LBB10_1032:
	s_or_b64 exec, exec, s[6:7]
	v_cmp_ne_u32_e32 vcc, 64, v24
	s_and_b64 exec, exec, vcc
	s_cbranch_execz .LBB10_1050
; %bb.1033:
	v_cmp_ne_u32_sdwa s[6:7], v17, v24 src0_sel:WORD_0 src1_sel:DWORD
	s_and_saveexec_b64 s[10:11], s[6:7]
	s_xor_b64 s[6:7], exec, s[10:11]
	s_cbranch_execz .LBB10_1048
; %bb.1034:
	v_and_b32_e32 v0, 63, v31
	v_cmp_eq_u32_e32 vcc, 0, v0
	s_and_saveexec_b64 s[10:11], vcc
	s_cbranch_execz .LBB10_1047
; %bb.1035:
	s_mov_b64 s[14:15], exec
	v_mbcnt_lo_u32_b32 v0, s14, 0
	v_mbcnt_hi_u32_b32 v0, s15, v0
	v_cmp_eq_u32_e32 vcc, 0, v0
	s_waitcnt vmcnt(0) lgkmcnt(0)
	buffer_wbinvl1_vol
	s_and_saveexec_b64 s[12:13], vcc
	s_cbranch_execz .LBB10_1037
; %bb.1036:
	s_bcnt1_i32_b64 s14, s[14:15]
	v_mov_b32_e32 v0, s14
	v_mov_b32_e32 v1, 0
	ds_add_u64 v0, v[0:1]
	s_trap 2
.LBB10_1037:
	s_or_b64 exec, exec, s[12:13]
	v_ashrrev_i32_e32 v0, 31, v24
	v_lshrrev_b32_e32 v0, 26, v0
	v_add_u32_e32 v0, v24, v0
	v_ashrrev_i32_e32 v0, 6, v0
	s_trap 2
	ds_read_b64 v[2:3], v0
	v_ashrrev_i32_e32 v1, 31, v0
	v_add_co_u32_e32 v0, vcc, v34, v0
	v_addc_co_u32_e32 v1, vcc, v35, v1, vcc
	s_waitcnt lgkmcnt(0)
	v_cmp_lt_u64_e32 vcc, v[2:3], v[0:1]
	s_and_saveexec_b64 s[12:13], vcc
	s_cbranch_execz .LBB10_1046
; %bb.1038:
	s_mov_b32 s26, 0
	s_mov_b64 s[14:15], 0
                                        ; implicit-def: $sgpr16_sgpr17
                                        ; implicit-def: $sgpr18_sgpr19
	s_branch .LBB10_1040
.LBB10_1039:                            ;   in Loop: Header=BB10_1040 Depth=1
	s_or_b64 exec, exec, s[24:25]
	s_and_b64 s[20:21], exec, s[22:23]
	s_or_b64 s[14:15], s[20:21], s[14:15]
	s_andn2_b64 s[16:17], s[16:17], exec
	s_and_b64 s[20:21], s[18:19], exec
	s_or_b64 s[16:17], s[16:17], s[20:21]
	s_andn2_b64 exec, exec, s[14:15]
	s_cbranch_execz .LBB10_1044
.LBB10_1040:                            ; =>This Inner Loop Header: Depth=1
	s_add_i32 s26, s26, 1
	s_cmpk_lg_i32 s26, 0x2710
	s_cselect_b64 s[20:21], -1, 0
	s_and_b64 vcc, exec, s[20:21]
                                        ; implicit-def: $sgpr24_sgpr25
	s_cbranch_vccnz .LBB10_1042
; %bb.1041:                             ;   in Loop: Header=BB10_1040 Depth=1
	s_trap 2
	ds_read_b64 v[2:3], v0
	s_andn2_b64 s[20:21], s[20:21], exec
	s_mov_b32 s26, 0
	s_mov_b64 s[24:25], -1
	s_waitcnt lgkmcnt(0)
	flat_load_dword v2, v[2:3] glc
	s_waitcnt vmcnt(0) lgkmcnt(0)
	buffer_invl2
	buffer_wbinvl1_vol
	v_cmp_eq_u32_e32 vcc, 0, v2
	s_and_b64 s[22:23], vcc, exec
	s_or_b64 s[20:21], s[20:21], s[22:23]
.LBB10_1042:                            ;   in Loop: Header=BB10_1040 Depth=1
	s_andn2_b64 s[18:19], s[18:19], exec
	s_and_b64 s[24:25], s[24:25], exec
	s_mov_b64 s[22:23], -1
	s_or_b64 s[18:19], s[18:19], s[24:25]
	s_and_saveexec_b64 s[24:25], s[20:21]
	s_cbranch_execz .LBB10_1039
; %bb.1043:                             ;   in Loop: Header=BB10_1040 Depth=1
	s_sleep 1
	s_trap 2
	ds_read_b64 v[2:3], v0
	s_andn2_b64 s[18:19], s[18:19], exec
	s_waitcnt lgkmcnt(0)
	v_cmp_ge_u64_e32 vcc, v[2:3], v[0:1]
	s_orn2_b64 s[22:23], vcc, exec
	s_branch .LBB10_1039
.LBB10_1044:
	s_or_b64 exec, exec, s[14:15]
	s_and_saveexec_b64 s[14:15], s[16:17]
	s_xor_b64 s[14:15], exec, s[14:15]
	s_cbranch_execz .LBB10_1046
; %bb.1045:
	v_mov_b32_e32 v0, 1
	ds_write_b32 v0, v0
	s_trap 2
.LBB10_1046:
	s_or_b64 exec, exec, s[12:13]
	;;#ASMSTART
	s_wakeup
	;;#ASMEND
.LBB10_1047:
	s_or_b64 exec, exec, s[10:11]
.LBB10_1048:
	s_andn2_saveexec_b64 s[6:7], s[6:7]
	s_cbranch_execz .LBB10_1050
; %bb.1049:
	s_waitcnt vmcnt(0) lgkmcnt(0)
	buffer_wbinvl1_vol
	s_barrier
.LBB10_1050:
	s_or_b64 exec, exec, s[4:5]
.LBB10_1051:
	s_andn2_saveexec_b64 s[26:27], s[40:41]
	s_cbranch_execz .LBB10_1053
; %bb.1052:
	s_getpc_b64 s[4:5]
	s_add_u32 s4, s4, __PRETTY_FUNCTION__._ZN10PrimitivesIa7FuncSumIaE12FanSymmetricILi1EELi0E11ProtoSimpleILi2ELi2ELi0ELi2ELi0ELi0EELi0ELb0ELi0ELi0ELi0EEC2EiiPKiS8_PKvPvmhhhP15ncclDevWorkCollP14ncclDevWorkP2pii@rel32@lo+4
	s_addc_u32 s5, s5, __PRETTY_FUNCTION__._ZN10PrimitivesIa7FuncSumIaE12FanSymmetricILi1EELi0E11ProtoSimpleILi2ELi2ELi0ELi2ELi0ELi0EELi0ELb0ELi0ELi0ELi0EEC2EiiPKiS8_PKvPvmhhhP15ncclDevWorkCollP14ncclDevWorkP2pii@rel32@hi+12
	v_mov_b32_e32 v0, s4
	v_mov_b32_e32 v1, s5
	s_getpc_b64 s[6:7]
	s_add_u32 s6, s6, __assert_fail@rel32@lo+4
	s_addc_u32 s7, s7, __assert_fail@rel32@hi+12
	s_swappc_b64 s[30:31], s[6:7]
	; divergent unreachable
.LBB10_1053:
	s_or_b64 exec, exec, s[26:27]
.LBB10_1054:
	s_or_b64 exec, exec, s[38:39]
	buffer_load_dword a37, off, s[0:3], s33 ; 4-byte Folded Reload
	buffer_load_dword a36, off, s[0:3], s33 offset:4 ; 4-byte Folded Reload
	buffer_load_dword a35, off, s[0:3], s33 offset:8 ; 4-byte Folded Reload
	;; [unrolled: 1-line block ×20, first 2 shown]
	v_readlane_b32 s30, v63, 44
	v_readlane_b32 s31, v63, 45
	;; [unrolled: 1-line block ×47, first 2 shown]
	s_or_saveexec_b64 s[6:7], -1
	buffer_load_dword v63, off, s[0:3], s33 offset:84 ; 4-byte Folded Reload
	s_mov_b64 exec, s[6:7]
	s_addk_i32 s32, 0xe800
	s_mov_b32 s33, s4
	s_waitcnt vmcnt(0) lgkmcnt(0)
	s_setpc_b64 s[30:31]
.Lfunc_end10:
	.size	_ZN12_GLOBAL__N_17runRingIa7FuncSumIaE11ProtoSimpleILi2ELi2ELi0ELi2ELi0ELi0EELi0ELi2ELi0ELb0EEEviiP15ncclDevWorkColl, .Lfunc_end10-_ZN12_GLOBAL__N_17runRingIa7FuncSumIaE11ProtoSimpleILi2ELi2ELi0ELi2ELi0ELi0EELi0ELi2ELi0ELb0EEEviiP15ncclDevWorkColl
                                        ; -- End function
	.section	.AMDGPU.csdata,"",@progbits
; Function info:
; codeLenInByte = 32164
; NumSgprs: 82
; NumVgprs: 64
; NumAgprs: 38
; TotalNumVgprs: 102
; ScratchSize: 160
; MemoryBound: 0
	.text
	.p2align	2                               ; -- Begin function _Z46ncclDevFunc_AllGather_RING_SIMPLE_Sum_i8_0_0_2v
	.type	_Z46ncclDevFunc_AllGather_RING_SIMPLE_Sum_i8_0_0_2v,@function
_Z46ncclDevFunc_AllGather_RING_SIMPLE_Sum_i8_0_0_2v: ; @_Z46ncclDevFunc_AllGather_RING_SIMPLE_Sum_i8_0_0_2v
; %bb.0:
	s_waitcnt vmcnt(0) expcnt(0) lgkmcnt(0)
	s_mov_b32 s4, s33
	s_mov_b32 s33, s32
	s_or_saveexec_b64 s[6:7], -1
	buffer_store_dword v43, off, s[0:3], s33 offset:16 ; 4-byte Folded Spill
	s_mov_b64 exec, s[6:7]
	v_writelane_b32 v43, s4, 54
	s_addk_i32 s32, 0x800
	buffer_store_dword v40, off, s[0:3], s33 offset:12 ; 4-byte Folded Spill
	buffer_store_dword v41, off, s[0:3], s33 offset:8 ; 4-byte Folded Spill
	;; [unrolled: 1-line block ×3, first 2 shown]
	buffer_store_dword v63, off, s[0:3], s33 ; 4-byte Folded Spill
	v_writelane_b32 v43, s34, 0
	v_writelane_b32 v43, s35, 1
	v_writelane_b32 v43, s36, 2
	v_writelane_b32 v43, s37, 3
	v_writelane_b32 v43, s38, 4
	v_writelane_b32 v43, s39, 5
	v_writelane_b32 v43, s40, 6
	v_writelane_b32 v43, s41, 7
	v_writelane_b32 v43, s42, 8
	v_writelane_b32 v43, s43, 9
	v_writelane_b32 v43, s44, 10
	v_writelane_b32 v43, s45, 11
	v_writelane_b32 v43, s46, 12
	v_writelane_b32 v43, s47, 13
	v_writelane_b32 v43, s48, 14
	v_writelane_b32 v43, s49, 15
	v_writelane_b32 v43, s50, 16
	v_writelane_b32 v43, s51, 17
	v_writelane_b32 v43, s52, 18
	v_writelane_b32 v43, s53, 19
	v_writelane_b32 v43, s54, 20
	v_writelane_b32 v43, s55, 21
	v_writelane_b32 v43, s56, 22
	v_writelane_b32 v43, s57, 23
	v_writelane_b32 v43, s58, 24
	v_writelane_b32 v43, s59, 25
	v_writelane_b32 v43, s60, 26
	v_writelane_b32 v43, s61, 27
	v_writelane_b32 v43, s62, 28
	v_writelane_b32 v43, s63, 29
	v_writelane_b32 v43, s64, 30
	v_writelane_b32 v43, s65, 31
	v_writelane_b32 v43, s66, 32
	v_writelane_b32 v43, s67, 33
	v_writelane_b32 v43, s68, 34
	v_writelane_b32 v43, s69, 35
	v_writelane_b32 v43, s70, 36
	v_writelane_b32 v43, s71, 37
	v_writelane_b32 v43, s72, 38
	v_writelane_b32 v43, s73, 39
	v_writelane_b32 v43, s74, 40
	v_writelane_b32 v43, s75, 41
	v_writelane_b32 v43, s76, 42
	v_writelane_b32 v43, s77, 43
	v_writelane_b32 v43, s78, 44
	v_writelane_b32 v43, s79, 45
	v_writelane_b32 v43, s80, 46
	v_writelane_b32 v43, s81, 47
	v_writelane_b32 v43, s82, 48
	v_writelane_b32 v43, s83, 49
	v_writelane_b32 v43, s84, 50
	v_writelane_b32 v43, s85, 51
	v_writelane_b32 v43, s30, 52
	v_writelane_b32 v43, s31, 53
	s_trap 2
	ds_read_b32 v0, v0
	v_mov_b32_e32 v40, v31
	s_mov_b32 s80, s12
	s_mov_b64 s[78:79], s[8:9]
	s_waitcnt lgkmcnt(0)
	v_cmp_gt_i32_e32 vcc, 1, v0
	s_cbranch_vccnz .LBB11_8
; %bb.1:
	s_mov_b32 s81, 0
	v_and_b32_e32 v41, 0x3ff, v40
	s_mov_b64 s[82:83], src_shared_base
	v_mov_b32_e32 v42, 6
	s_branch .LBB11_3
.LBB11_2:                               ;   in Loop: Header=BB11_3 Depth=1
	s_or_b64 exec, exec, s[84:85]
	s_trap 2
	ds_read_b32 v0, v0
	s_add_i32 s81, s81, 1
	s_waitcnt lgkmcnt(0)
	v_cmp_lt_i32_e32 vcc, s81, v0
	s_cbranch_vccz .LBB11_8
.LBB11_3:                               ; =>This Inner Loop Header: Depth=1
	s_trap 2
	ds_read_b32 v0, v0
	s_cmp_eq_u32 s81, 0
	s_cbranch_scc1 .LBB11_6
; %bb.4:                                ;   in Loop: Header=BB11_3 Depth=1
	s_trap 2
	s_waitcnt lgkmcnt(0)
	ds_read_b32 v1, v0
	s_waitcnt lgkmcnt(0)
	v_xor_b32_e32 v1, v1, v0
	v_and_b32_e32 v1, 0xff0000, v1
	v_cmp_eq_u32_e32 vcc, 0, v1
	s_cbranch_vccnz .LBB11_6
; %bb.5:                                ;   in Loop: Header=BB11_3 Depth=1
	s_barrier
	ds_read_b32 v0, v0
.LBB11_6:                               ;   in Loop: Header=BB11_3 Depth=1
	s_waitcnt lgkmcnt(0)
	v_lshlrev_b32_sdwa v1, v42, v0 dst_sel:DWORD dst_unused:UNUSED_PAD src0_sel:DWORD src1_sel:BYTE_2
	v_cmp_lt_u32_e32 vcc, v41, v1
	s_and_saveexec_b64 s[84:85], vcc
	s_cbranch_execz .LBB11_2
; %bb.7:                                ;   in Loop: Header=BB11_3 Depth=1
	s_mov_b64 s[8:9], s[78:79]
	s_mov_b32 s12, s80
	v_mov_b32_e32 v31, v40
	v_mov_b32_e32 v0, v41
	;; [unrolled: 1-line block ×3, first 2 shown]
	s_getpc_b64 s[4:5]
	s_add_u32 s4, s4, _ZN12_GLOBAL__N_17runRingIa7FuncSumIaE11ProtoSimpleILi2ELi2ELi0ELi2ELi0ELi0EELi0ELi2ELi0ELb0EEEviiP15ncclDevWorkColl@rel32@lo+4
	s_addc_u32 s5, s5, _ZN12_GLOBAL__N_17runRingIa7FuncSumIaE11ProtoSimpleILi2ELi2ELi0ELi2ELi0ELi0EELi0ELi2ELi0ELb0EEEviiP15ncclDevWorkColl@rel32@hi+12
	s_swappc_b64 s[30:31], s[4:5]
	s_branch .LBB11_2
.LBB11_8:
	buffer_load_dword v63, off, s[0:3], s33 ; 4-byte Folded Reload
	buffer_load_dword v42, off, s[0:3], s33 offset:4 ; 4-byte Folded Reload
	buffer_load_dword v41, off, s[0:3], s33 offset:8 ; 4-byte Folded Reload
	;; [unrolled: 1-line block ×3, first 2 shown]
	v_readlane_b32 s30, v43, 52
	v_readlane_b32 s31, v43, 53
	;; [unrolled: 1-line block ×55, first 2 shown]
	s_or_saveexec_b64 s[6:7], -1
	buffer_load_dword v43, off, s[0:3], s33 offset:16 ; 4-byte Folded Reload
	s_mov_b64 exec, s[6:7]
	s_addk_i32 s32, 0xf800
	s_mov_b32 s33, s4
	s_waitcnt vmcnt(0)
	s_setpc_b64 s[30:31]
.Lfunc_end11:
	.size	_Z46ncclDevFunc_AllGather_RING_SIMPLE_Sum_i8_0_0_2v, .Lfunc_end11-_Z46ncclDevFunc_AllGather_RING_SIMPLE_Sum_i8_0_0_2v
                                        ; -- End function
	.section	.AMDGPU.csdata,"",@progbits
; Function info:
; codeLenInByte = 1244
; NumSgprs: 90
; NumVgprs: 64
; NumAgprs: 38
; TotalNumVgprs: 102
; ScratchSize: 192
; MemoryBound: 0
	.text
	.p2align	2                               ; -- Begin function _Z41ncclDevFunc_AllGather_PAT_LL_Sum_i8_0_0_2v
	.type	_Z41ncclDevFunc_AllGather_PAT_LL_Sum_i8_0_0_2v,@function
_Z41ncclDevFunc_AllGather_PAT_LL_Sum_i8_0_0_2v: ; @_Z41ncclDevFunc_AllGather_PAT_LL_Sum_i8_0_0_2v
; %bb.0:
	s_waitcnt vmcnt(0) expcnt(0) lgkmcnt(0)
	s_trap 2
	ds_read_b32 v0, v0
	s_waitcnt lgkmcnt(0)
	v_cmp_gt_i32_e32 vcc, 1, v0
	s_cbranch_vccnz .LBB12_6
; %bb.1:
	s_mov_b32 s4, 0
	s_branch .LBB12_3
.LBB12_2:                               ;   in Loop: Header=BB12_3 Depth=1
	s_add_i32 s4, s4, 1
	s_waitcnt lgkmcnt(0)
	v_cmp_lt_i32_e32 vcc, s4, v0
	s_cbranch_vccz .LBB12_6
.LBB12_3:                               ; =>This Inner Loop Header: Depth=1
	s_cmp_eq_u32 s4, 0
	s_cbranch_scc1 .LBB12_2
; %bb.4:                                ;   in Loop: Header=BB12_3 Depth=1
	s_trap 2
	ds_read_b32 v1, v0
	s_waitcnt lgkmcnt(0)
	v_xor_b32_e32 v1, v1, v1
	v_and_b32_e32 v1, 0xff0000, v1
	v_cmp_eq_u32_e32 vcc, 0, v1
	s_cbranch_vccnz .LBB12_2
; %bb.5:                                ;   in Loop: Header=BB12_3 Depth=1
	s_barrier
	s_trap 2
	ds_read_b32 v0, v0
	s_branch .LBB12_2
.LBB12_6:
	s_setpc_b64 s[30:31]
.Lfunc_end12:
	.size	_Z41ncclDevFunc_AllGather_PAT_LL_Sum_i8_0_0_2v, .Lfunc_end12-_Z41ncclDevFunc_AllGather_PAT_LL_Sum_i8_0_0_2v
                                        ; -- End function
	.section	.AMDGPU.csdata,"",@progbits
; Function info:
; codeLenInByte = 120
; NumSgprs: 36
; NumVgprs: 2
; NumAgprs: 0
; TotalNumVgprs: 2
; ScratchSize: 0
; MemoryBound: 0
	.text
	.p2align	2                               ; -- Begin function _Z45ncclDevFunc_AllGather_PAT_SIMPLE_Sum_i8_0_0_2v
	.type	_Z45ncclDevFunc_AllGather_PAT_SIMPLE_Sum_i8_0_0_2v,@function
_Z45ncclDevFunc_AllGather_PAT_SIMPLE_Sum_i8_0_0_2v: ; @_Z45ncclDevFunc_AllGather_PAT_SIMPLE_Sum_i8_0_0_2v
; %bb.0:
	s_waitcnt vmcnt(0) expcnt(0) lgkmcnt(0)
	s_or_saveexec_b64 s[4:5], -1
	buffer_store_dword v63, off, s[0:3], s32 offset:344 ; 4-byte Folded Spill
	s_mov_b64 exec, s[4:5]
	v_accvgpr_write_b32 a12, v40            ;  Reload Reuse
	v_accvgpr_write_b32 a13, v41            ;  Reload Reuse
	;; [unrolled: 1-line block ×15, first 2 shown]
	v_writelane_b32 v63, s34, 0
	v_writelane_b32 v63, s35, 1
	;; [unrolled: 1-line block ×40, first 2 shown]
	s_trap 2
	ds_read_b32 v0, v0
	s_waitcnt lgkmcnt(0)
	v_cmp_gt_i32_e32 vcc, 1, v0
	s_cbranch_vccnz .LBB13_389
; %bb.1:
	s_load_dword s4, s[8:9], 0x0
	v_mov_b32_e32 v8, 0
	v_and_b32_e32 v32, 0x3ff, v31
	v_and_b32_e32 v0, 63, v32
	s_mov_b32 s30, 0
	s_waitcnt lgkmcnt(0)
	s_cmp_lt_u32 s12, s4
	s_cselect_b32 s4, 12, 18
	s_add_u32 s4, s8, s4
	s_addc_u32 s5, s9, 0
	global_load_ushort a0, v8, s[4:5]
	s_movk_i32 s12, 0x80
	v_accvgpr_write_b32 a1, v0
	v_cmp_eq_u32_e64 s[14:15], 0, v0
	v_lshrrev_b32_e64 v0, 6, s32
	s_mov_b64 s[34:35], src_shared_base
	s_brev_b32 s31, 1
	v_cmp_gt_u32_e64 s[4:5], 32, v32
	v_cmp_eq_u32_e64 s[6:7], 0, v32
	v_cmp_eq_u32_e64 s[8:9], s12, v32
	v_cmp_ne_u32_e64 s[10:11], s12, v32
	v_cmp_gt_u32_e64 s[12:13], s12, v32
	v_add_u32_e32 v50, 0x58, v0
	s_movk_i32 s64, 0xe00
	s_movk_i32 s65, 0x800
	v_mov_b32_e32 v51, 1
	s_movk_i32 s34, 0x270e
	s_movk_i32 s66, 0x400
	;; [unrolled: 1-line block ×3, first 2 shown]
	v_mov_b32_e32 v52, 2
	v_mov_b32_e32 v53, -1
	s_movk_i32 s68, 0x1f8
	s_mov_b32 s69, s30
	s_trap 2
	s_branch .LBB13_4
.LBB13_2:                               ;   in Loop: Header=BB13_4 Depth=1
	s_or_b64 exec, exec, s[26:27]
.LBB13_3:                               ;   in Loop: Header=BB13_4 Depth=1
	s_or_b64 exec, exec, s[36:37]
	s_trap 2
	ds_read_b32 v0, v0
	s_add_i32 s69, s69, 1
	s_waitcnt lgkmcnt(0)
	v_cmp_lt_i32_e32 vcc, s69, v0
	s_cbranch_vccz .LBB13_389
.LBB13_4:                               ; =>This Loop Header: Depth=1
                                        ;     Child Loop BB13_18 Depth 2
                                        ;     Child Loop BB13_26 Depth 2
                                        ;     Child Loop BB13_40 Depth 2
                                        ;     Child Loop BB13_53 Depth 2
                                        ;       Child Loop BB13_54 Depth 3
                                        ;       Child Loop BB13_63 Depth 3
	;; [unrolled: 1-line block ×12, first 2 shown]
                                        ;     Child Loop BB13_232 Depth 2
                                        ;     Child Loop BB13_243 Depth 2
	;; [unrolled: 1-line block ×7, first 2 shown]
                                        ;       Child Loop BB13_290 Depth 3
                                        ;       Child Loop BB13_352 Depth 3
	;; [unrolled: 1-line block ×5, first 2 shown]
	s_trap 2
	ds_read_b32 v12, v0
	s_cmp_eq_u32 s69, 0
	s_cbranch_scc1 .LBB13_7
; %bb.5:                                ;   in Loop: Header=BB13_4 Depth=1
	s_trap 2
	ds_read_b32 v0, v0
	s_waitcnt lgkmcnt(0)
	v_xor_b32_e32 v0, v0, v12
	v_and_b32_e32 v0, 0xff0000, v0
	v_cmp_eq_u32_e32 vcc, 0, v0
	s_cbranch_vccnz .LBB13_7
; %bb.6:                                ;   in Loop: Header=BB13_4 Depth=1
	s_barrier
	s_trap 2
	ds_read_b32 v12, v0
.LBB13_7:                               ;   in Loop: Header=BB13_4 Depth=1
	s_waitcnt lgkmcnt(0)
	v_bfe_u32 v11, v12, 16, 8
	v_lshlrev_b32_e32 v9, 6, v11
	v_cmp_lt_u32_e32 vcc, v32, v9
	s_and_saveexec_b64 s[36:37], vcc
	s_cbranch_execz .LBB13_3
; %bb.8:                                ;   in Loop: Header=BB13_4 Depth=1
	s_trap 2
	ds_read_b64 v[4:5], v0
	ds_read_b32 v10, v0
	ds_read2_b64 v[0:3], v0 offset1:1
	v_not_b32_sdwa v13, v12 dst_sel:DWORD dst_unused:UNUSED_PAD src0_sel:BYTE_0
	v_add_u32_sdwa v6, v12, v13 dst_sel:DWORD dst_unused:UNUSED_PAD src0_sel:BYTE_1 src1_sel:DWORD
	v_ashrrev_i32_e32 v7, 31, v6
	s_waitcnt lgkmcnt(0)
	v_cmp_ne_u32_sdwa s[16:17], v12, v10 src0_sel:BYTE_0 src1_sel:DWORD
	s_waitcnt lgkmcnt(0)
	v_mul_lo_u32 v7, v2, v7
	v_mul_hi_u32 v14, v2, v6
	v_add_u32_e32 v7, v14, v7
	v_mul_lo_u32 v14, v3, v6
	v_mul_lo_u32 v6, v2, v6
	v_add_u32_e32 v7, v7, v14
	s_and_b64 vcc, exec, s[16:17]
	v_add_co_u32_e64 v6, s[16:17], v6, v0
	v_readfirstlane_b32 s71, v4
	v_readfirstlane_b32 s70, v5
	v_addc_co_u32_e64 v7, s[16:17], v7, v1, s[16:17]
	s_cbranch_vccz .LBB13_11
; %bb.9:                                ;   in Loop: Header=BB13_4 Depth=1
	v_cmp_ne_u32_sdwa s[16:17], v12, v10 src0_sel:BYTE_1 src1_sel:DWORD
	s_and_b64 vcc, exec, s[16:17]
	s_cbranch_vccz .LBB13_12
; %bb.10:                               ;   in Loop: Header=BB13_4 Depth=1
	v_add_u32_e32 v10, v10, v13
	s_trap 2
	ds_read_b64 v[14:15], v0
	v_ashrrev_i32_e32 v12, 31, v10
	v_mul_lo_u32 v12, v2, v12
	v_mul_hi_u32 v13, v2, v10
	v_add_u32_e32 v12, v13, v12
	v_mul_lo_u32 v13, v3, v10
	v_mul_lo_u32 v10, v2, v10
	v_add_u32_e32 v13, v12, v13
	v_add_co_u32_e32 v12, vcc, v10, v0
	v_addc_co_u32_e32 v13, vcc, v13, v1, vcc
	s_waitcnt lgkmcnt(0)
	v_lshrrev_b64 v[14:15], 12, v[14:15]
	s_cbranch_execz .LBB13_13
	s_branch .LBB13_14
.LBB13_11:                              ;   in Loop: Header=BB13_4 Depth=1
                                        ; implicit-def: $vgpr14_vgpr15
                                        ; implicit-def: $vgpr12_vgpr13
	s_branch .LBB13_15
.LBB13_12:                              ;   in Loop: Header=BB13_4 Depth=1
                                        ; implicit-def: $vgpr14_vgpr15
                                        ; implicit-def: $vgpr12_vgpr13
.LBB13_13:                              ;   in Loop: Header=BB13_4 Depth=1
	s_trap 2
	ds_read_b32 v2, v0
	v_pk_mov_b32 v[12:13], v[6:7], v[6:7] op_sel:[0,1]
	s_waitcnt lgkmcnt(0)
	v_lshrrev_b32_e32 v14, 1, v2
	v_pk_mov_b32 v[2:3], v[4:5], v[4:5] op_sel:[0,1]
.LBB13_14:                              ;   in Loop: Header=BB13_4 Depth=1
	s_cbranch_execnz .LBB13_16
.LBB13_15:                              ;   in Loop: Header=BB13_4 Depth=1
	s_trap 2
	ds_read_b64 v[2:3], v0
	v_pk_mov_b32 v[12:13], 0, 0
	s_waitcnt lgkmcnt(0)
	v_lshlrev_b64 v[14:15], 9, v[2:3]
	v_pk_mov_b32 v[2:3], v[0:1], v[0:1] op_sel:[0,1]
.LBB13_16:                              ;   in Loop: Header=BB13_4 Depth=1
	s_barrier
	s_and_saveexec_b64 s[16:17], s[4:5]
	s_cbranch_execz .LBB13_19
; %bb.17:                               ;   in Loop: Header=BB13_4 Depth=1
	v_mul_lo_u32 v0, v11, s64
	s_mov_b64 s[18:19], 0
	v_mov_b32_e32 v10, v32
                                        ; implicit-def: $vgpr1
.LBB13_18:                              ;   Parent Loop BB13_4 Depth=1
                                        ; =>  This Inner Loop Header: Depth=2
	v_add_u32_e32 v10, v10, v9
	v_cmp_lt_u32_e32 vcc, 31, v10
	ds_write_b32 v1, v8
	s_or_b64 s[18:19], vcc, s[18:19]
	v_add_u32_e32 v1, v1, v0
	s_andn2_b64 exec, exec, s[18:19]
	s_cbranch_execnz .LBB13_18
.LBB13_19:                              ;   in Loop: Header=BB13_4 Depth=1
	s_or_b64 exec, exec, s[16:17]
	s_and_saveexec_b64 s[16:17], s[6:7]
	s_cbranch_execz .LBB13_21
; %bb.20:                               ;   in Loop: Header=BB13_4 Depth=1
	v_mov_b32_e32 v9, v8
	ds_write_b64 v0, v[8:9]
	s_trap 2
.LBB13_21:                              ;   in Loop: Header=BB13_4 Depth=1
	s_or_b64 exec, exec, s[16:17]
	s_and_saveexec_b64 s[16:17], s[8:9]
	s_cbranch_execz .LBB13_23
; %bb.22:                               ;   in Loop: Header=BB13_4 Depth=1
	ds_write_b32 v0, v8
	s_trap 2
.LBB13_23:                              ;   in Loop: Header=BB13_4 Depth=1
	s_or_b64 exec, exec, s[16:17]
	s_waitcnt lgkmcnt(0)
	s_barrier
	s_and_saveexec_b64 s[16:17], s[10:11]
	s_xor_b64 s[38:39], exec, s[16:17]
	s_cbranch_execz .LBB13_254
; %bb.24:                               ;   in Loop: Header=BB13_4 Depth=1
	s_and_saveexec_b64 s[40:41], s[12:13]
	s_cbranch_execz .LBB13_253
; %bb.25:                               ;   in Loop: Header=BB13_4 Depth=1
	s_trap 2
	ds_read_b128 v[0:3], v0
	s_mov_b64 s[16:17], 0
.LBB13_26:                              ;   Parent Loop BB13_4 Depth=1
                                        ; =>  This Inner Loop Header: Depth=2
	v_mov_b32_e32 v9, v8
	s_trap 2
	flat_load_dword v4, v[8:9] glc
	s_waitcnt vmcnt(0) lgkmcnt(0)
	v_cmp_ne_u32_e32 vcc, 0, v4
	s_or_b64 s[16:17], vcc, s[16:17]
	s_andn2_b64 exec, exec, s[16:17]
	s_cbranch_execnz .LBB13_26
; %bb.27:                               ;   in Loop: Header=BB13_4 Depth=1
	s_or_b64 exec, exec, s[16:17]
	v_lshlrev_b32_e32 v5, 6, v4
	v_sub_u32_e32 v6, 0, v5
	v_max_i32_e32 v5, v5, v6
	v_cvt_f32_u32_e32 v6, v5
	v_sub_u32_e32 v7, 0, v5
	v_bfe_i32 v4, v4, 25, 1
	s_trap 2
	v_rcp_iflag_f32_e32 v6, v6
	v_mov_b32_e32 v15, 0x800
	v_mul_f32_e32 v6, 0x4f7ffffe, v6
	v_cvt_u32_f32_e32 v6, v6
	v_mul_lo_u32 v7, v7, v6
	v_mul_hi_u32 v7, v6, v7
	v_add_u32_e32 v6, v6, v7
	v_lshrrev_b32_e32 v6, 25, v6
	v_mul_lo_u32 v7, v6, v5
	v_sub_u32_e32 v7, 0x80, v7
	v_add_u32_e32 v9, 1, v6
	v_cmp_ge_u32_e32 vcc, v7, v5
	v_cndmask_b32_e32 v6, v6, v9, vcc
	v_sub_u32_e32 v9, v7, v5
	v_cndmask_b32_e32 v7, v7, v9, vcc
	v_add_u32_e32 v9, 1, v6
	v_cmp_ge_u32_e32 vcc, v7, v5
	v_cndmask_b32_e32 v5, v6, v9, vcc
	v_xor_b32_e32 v5, v5, v4
	v_sub_u32_e32 v12, v5, v4
	v_lshlrev_b32_e32 v14, 6, v12
	v_sub_u32_e32 v4, 0, v14
	v_max_i32_e32 v9, v14, v4
	v_cvt_f32_u32_e32 v4, v9
	v_sub_u32_e32 v7, 0, v9
	v_bfe_i32 v13, v12, 25, 1
	v_rcp_iflag_f32_e32 v6, v4
	ds_read_b64 v[4:5], v0
	v_mul_f32_e32 v6, 0x4f7ffffe, v6
	v_cvt_u32_f32_e32 v6, v6
	v_mul_lo_u32 v7, v7, v6
	v_mul_hi_u32 v7, v6, v7
	v_add_u32_e32 v20, v6, v7
	v_mul_hi_u32 v6, v32, v20
	v_mul_lo_u32 v7, v6, v9
	v_sub_u32_e32 v7, v32, v7
	v_add_u32_e32 v10, 1, v6
	v_cmp_ge_u32_e32 vcc, v7, v9
	v_cndmask_b32_e32 v6, v6, v10, vcc
	v_sub_u32_e32 v10, v7, v9
	v_cndmask_b32_e32 v7, v7, v10, vcc
	v_add_u32_e32 v10, 1, v6
	v_cmp_ge_u32_e32 vcc, v7, v9
	v_cndmask_b32_e32 v6, v6, v10, vcc
	v_xor_b32_e32 v6, v6, v13
	v_sub_u32_e32 v54, v6, v13
	v_mul_lo_u32 v11, v54, v14
	v_sub_u32_e32 v40, v32, v11
	v_cmp_gt_i32_e32 vcc, 5, v40
	v_ashrrev_i32_e32 v41, 31, v40
	s_and_saveexec_b64 s[16:17], vcc
	s_cbranch_execz .LBB13_29
; %bb.28:                               ;   in Loop: Header=BB13_4 Depth=1
	v_lshlrev_b64 v[6:7], 2, v[40:41]
	s_getpc_b64 s[18:19]
	s_add_u32 s18, s18, __const.Primitives.roles.5@rel32@lo+4
	s_addc_u32 s19, s19, __const.Primitives.roles.5@rel32@hi+12
	v_mov_b32_e32 v10, s19
	v_add_co_u32_e32 v6, vcc, s18, v6
	v_addc_co_u32_e32 v7, vcc, v7, v10, vcc
	global_load_dword v6, v[6:7], off
	s_waitcnt vmcnt(0)
	v_or_b32_e32 v15, 0x800, v6
.LBB13_29:                              ;   in Loop: Header=BB13_4 Depth=1
	s_or_b64 exec, exec, s[16:17]
	ds_read_b32 v6, v0
	v_lshlrev_b64 v[18:19], v40, 1
	v_cmp_gt_i32_e32 vcc, 32, v40
	s_trap 2
	s_waitcnt lgkmcnt(0)
	v_ashrrev_i32_e32 v7, 31, v6
	v_cmp_lt_u64_e64 s[16:17], v[18:19], v[6:7]
	s_and_b64 s[18:19], vcc, s[16:17]
	s_and_saveexec_b64 s[16:17], s[18:19]
	s_cbranch_execz .LBB13_31
; %bb.30:                               ;   in Loop: Header=BB13_4 Depth=1
	v_cvt_f32_u32_e32 v7, v6
	ds_read_b32 v10, v0
	v_sub_u32_e32 v17, 0, v6
	v_lshlrev_b32_e64 v16, v40, 1
	v_rcp_iflag_f32_e32 v7, v7
	s_trap 2
	s_waitcnt lgkmcnt(0)
	v_add_u32_e32 v21, v10, v16
	ds_read_b64 v[18:19], v0
	v_mul_f32_e32 v7, 0x4f7ffffe, v7
	v_cvt_u32_f32_e32 v7, v7
	v_sub_u32_e32 v16, v6, v16
	v_add_u32_e32 v10, v16, v10
	s_mov_b32 s18, s30
	v_mul_lo_u32 v17, v17, v7
	v_mul_hi_u32 v17, v7, v17
	v_add_u32_e32 v7, v7, v17
	v_mul_hi_u32 v17, v21, v7
	v_mul_lo_u32 v17, v17, v6
	v_sub_u32_e32 v17, v21, v17
	v_sub_u32_e32 v21, v17, v6
	v_cmp_ge_u32_e32 vcc, v17, v6
	v_cndmask_b32_e32 v17, v17, v21, vcc
	v_sub_u32_e32 v21, v17, v6
	v_cmp_ge_u32_e32 vcc, v17, v6
	v_cndmask_b32_e32 v22, v17, v21, vcc
	v_ashrrev_i32_e32 v23, 31, v22
	v_lshlrev_b64 v[22:23], 3, v[22:23]
	s_waitcnt lgkmcnt(0)
	v_add_co_u32_e32 v22, vcc, v18, v22
	v_addc_co_u32_e32 v23, vcc, v19, v23, vcc
	flat_load_dwordx2 v[26:27], v[22:23]
	v_mul_hi_u32 v7, v10, v7
	v_mul_lo_u32 v7, v7, v6
	v_sub_u32_e32 v7, v10, v7
	v_sub_u32_e32 v10, v7, v6
	s_mov_b32 s19, s30
	s_waitcnt vmcnt(0) lgkmcnt(0)
	v_add_co_u32_e32 v22, vcc, s68, v26
	v_addc_co_u32_e32 v23, vcc, 0, v27, vcc
	ds_write_b64 v0, v[22:23]
	flat_load_dwordx2 v[22:23], v[26:27] offset:520
	flat_load_dwordx2 v[28:29], v[26:27] offset:608
	v_cmp_ge_u32_e32 vcc, v7, v6
	v_cndmask_b32_e32 v7, v7, v10, vcc
	v_sub_u32_e32 v10, v7, v6
	v_cmp_ge_u32_e32 vcc, v7, v6
	v_cndmask_b32_e32 v6, v7, v10, vcc
	v_ashrrev_i32_e32 v7, 31, v6
	v_lshlrev_b64 v[6:7], 3, v[6:7]
	v_add_co_u32_e32 v6, vcc, v18, v6
	v_addc_co_u32_e32 v7, vcc, v19, v7, vcc
	s_waitcnt vmcnt(0) lgkmcnt(0)
	ds_write_b64 v0, v[22:23]
	flat_load_dwordx4 v[22:25], v[26:27] offset:552
	ds_write_b64 v0, v[28:29]
	s_waitcnt vmcnt(0) lgkmcnt(0)
	ds_write_b64 v0, v[22:23]
	flat_load_dwordx2 v[18:19], v[22:23] glc
	ds_write_b64 v0, v[24:25]
	flat_load_dwordx2 v[6:7], v[6:7]
	s_waitcnt vmcnt(0) lgkmcnt(0)
	flat_load_dwordx2 v[22:23], v[6:7] offset:104
	flat_load_dword v10, v[26:27] offset:576
	v_pk_mov_b32 v[26:27], s[18:19], s[18:19] op_sel:[0,1]
	s_waitcnt vmcnt(0) lgkmcnt(0)
	ds_write2_b64 v0, v[22:23], v[6:7] offset1:1
	flat_load_dwordx2 v[22:23], v[6:7] offset:96
	s_waitcnt vmcnt(0) lgkmcnt(0)
	ds_write_b64 v0, v[22:23]
	flat_load_dwordx2 v[22:23], v[6:7] offset:16
	flat_load_dwordx2 v[24:25], v[6:7] offset:56
	ds_write_b64 v0, v[26:27]
	ds_write_b64 v0, v[18:19]
	ds_write_b32 v0, v10
	s_waitcnt vmcnt(0) lgkmcnt(0)
	ds_write2_b64 v0, v[22:23], v[24:25] offset1:1
	flat_load_dwordx2 v[18:19], v[24:25] glc
	flat_load_dwordx2 v[22:23], v[6:7] offset:48
	s_waitcnt vmcnt(0) lgkmcnt(0)
	ds_write2_b64 v0, v[22:23], v[18:19] offset1:1
	flat_load_dword v6, v[6:7] offset:72
	ds_write_b64 v0, v[26:27]
	s_waitcnt vmcnt(0) lgkmcnt(0)
	ds_write_b32 v0, v6
.LBB13_31:                              ;   in Loop: Header=BB13_4 Depth=1
	s_or_b64 exec, exec, s[16:17]
	v_cmp_eq_u32_e32 vcc, 0, v40
	s_trap 2
	s_and_saveexec_b64 s[16:17], vcc
	s_cbranch_execz .LBB13_33
; %bb.32:                               ;   in Loop: Header=BB13_4 Depth=1
	ds_write2_b64 v0, v[2:3], v[0:1] offset0:14 offset1:15
	ds_write_b64 v0, v[4:5]
	s_trap 2
.LBB13_33:                              ;   in Loop: Header=BB13_4 Depth=1
	s_or_b64 exec, exec, s[16:17]
	v_accvgpr_read_b32 v0, a0
	v_cmp_ne_u32_e64 s[16:17], v14, v0
                                        ; implicit-def: $vgpr18_vgpr19
                                        ; implicit-def: $vgpr0
	s_and_saveexec_b64 s[18:19], s[16:17]
	s_xor_b64 s[18:19], exec, s[18:19]
	s_cbranch_execz .LBB13_49
; %bb.34:                               ;   in Loop: Header=BB13_4 Depth=1
	v_pk_mov_b32 v[18:19], 0, 0
	v_accvgpr_read_b32 v0, a1
	s_and_saveexec_b64 s[20:21], s[14:15]
	s_cbranch_execz .LBB13_48
; %bb.35:                               ;   in Loop: Header=BB13_4 Depth=1
	s_mov_b64 s[24:25], exec
	v_mbcnt_lo_u32_b32 v0, s24, 0
	v_mbcnt_hi_u32_b32 v0, s25, v0
	v_cmp_eq_u32_e32 vcc, 0, v0
	s_waitcnt lgkmcnt(0)
	buffer_wbinvl1_vol
	s_and_saveexec_b64 s[22:23], vcc
	s_cbranch_execz .LBB13_37
; %bb.36:                               ;   in Loop: Header=BB13_4 Depth=1
	s_bcnt1_i32_b64 s24, s[24:25]
	v_mov_b32_e32 v0, s24
	v_mov_b32_e32 v1, v8
	ds_add_u64 v0, v[0:1]
	s_trap 2
.LBB13_37:                              ;   in Loop: Header=BB13_4 Depth=1
	s_or_b64 exec, exec, s[22:23]
	s_trap 2
	ds_read_b64 v[0:1], v0
	s_waitcnt lgkmcnt(0)
	v_cmp_lt_u64_e32 vcc, 1, v[0:1]
	s_cbranch_vccnz .LBB13_47
; %bb.38:                               ;   in Loop: Header=BB13_4 Depth=1
	s_mov_b32 s44, 0
	s_mov_b64 s[22:23], 0
                                        ; implicit-def: $sgpr24_sgpr25
                                        ; implicit-def: $sgpr26_sgpr27
	s_branch .LBB13_40
.LBB13_39:                              ;   in Loop: Header=BB13_40 Depth=2
	s_or_b64 exec, exec, s[42:43]
	s_and_b64 s[28:29], exec, vcc
	s_or_b64 s[22:23], s[28:29], s[22:23]
	s_andn2_b64 s[24:25], s[24:25], exec
	s_and_b64 s[28:29], s[26:27], exec
	s_or_b64 s[24:25], s[24:25], s[28:29]
	s_andn2_b64 exec, exec, s[22:23]
	s_cbranch_execz .LBB13_44
.LBB13_40:                              ;   Parent Loop BB13_4 Depth=1
                                        ; =>  This Inner Loop Header: Depth=2
	s_add_i32 s44, s44, 1
	s_cmpk_lg_i32 s44, 0x2710
	s_cselect_b64 s[28:29], -1, 0
	s_and_b64 vcc, exec, s[28:29]
                                        ; implicit-def: $sgpr42_sgpr43
	s_cbranch_vccnz .LBB13_42
; %bb.41:                               ;   in Loop: Header=BB13_40 Depth=2
	s_trap 2
	ds_read_b64 v[0:1], v0
	s_andn2_b64 s[28:29], s[28:29], exec
	s_mov_b32 s44, 0
	s_mov_b64 s[42:43], -1
	s_waitcnt lgkmcnt(0)
	flat_load_dword v0, v[0:1] glc
	s_waitcnt vmcnt(0) lgkmcnt(0)
	buffer_invl2
	buffer_wbinvl1_vol
	v_cmp_eq_u32_e32 vcc, 0, v0
	s_and_b64 vcc, vcc, exec
	s_or_b64 s[28:29], s[28:29], vcc
.LBB13_42:                              ;   in Loop: Header=BB13_40 Depth=2
	s_andn2_b64 s[26:27], s[26:27], exec
	s_and_b64 s[42:43], s[42:43], exec
	s_mov_b64 vcc, -1
	s_or_b64 s[26:27], s[26:27], s[42:43]
	s_and_saveexec_b64 s[42:43], s[28:29]
	s_cbranch_execz .LBB13_39
; %bb.43:                               ;   in Loop: Header=BB13_40 Depth=2
	s_sleep 1
	s_trap 2
	ds_read_b64 v[0:1], v0
	s_andn2_b64 s[26:27], s[26:27], exec
	s_waitcnt lgkmcnt(0)
	v_cmp_lt_u64_e32 vcc, 1, v[0:1]
	s_orn2_b64 vcc, vcc, exec
	s_branch .LBB13_39
.LBB13_44:                              ;   in Loop: Header=BB13_4 Depth=1
	s_or_b64 exec, exec, s[22:23]
	s_and_saveexec_b64 s[22:23], s[24:25]
	s_xor_b64 s[22:23], exec, s[22:23]
	s_cbranch_execz .LBB13_46
; %bb.45:                               ;   in Loop: Header=BB13_4 Depth=1
	ds_write_b32 v0, v51
	s_trap 2
.LBB13_46:                              ;   in Loop: Header=BB13_4 Depth=1
	s_or_b64 exec, exec, s[22:23]
.LBB13_47:                              ;   in Loop: Header=BB13_4 Depth=1
	v_mov_b32_e32 v18, 2
	v_mov_b32_e32 v19, 0
	;; [unrolled: 1-line block ×3, first 2 shown]
	;;#ASMSTART
	s_wakeup
	;;#ASMEND
.LBB13_48:                              ;   in Loop: Header=BB13_4 Depth=1
	s_or_b64 exec, exec, s[20:21]
.LBB13_49:                              ;   in Loop: Header=BB13_4 Depth=1
	s_or_saveexec_b64 s[18:19], s[18:19]
	v_accvgpr_write_b32 a2, v32
	s_xor_b64 exec, exec, s[18:19]
	s_cbranch_execz .LBB13_51
; %bb.50:                               ;   in Loop: Header=BB13_4 Depth=1
	v_pk_mov_b32 v[18:19], 0, 0
	v_accvgpr_read_b32 v0, a1
	s_waitcnt lgkmcnt(0)
	buffer_wbinvl1_vol
	s_barrier
.LBB13_51:                              ;   in Loop: Header=BB13_4 Depth=1
	s_or_b64 exec, exec, s[18:19]
	v_lshrrev_b32_e32 v1, 25, v20
	v_mul_lo_u32 v2, v1, v9
	v_sub_u32_e32 v2, 0x80, v2
	v_add_u32_e32 v3, 1, v1
	v_cmp_ge_u32_e32 vcc, v2, v9
	v_cndmask_b32_e32 v1, v1, v3, vcc
	v_sub_u32_e32 v3, v2, v9
	v_cmp_eq_u32_e64 s[18:19], 0, v0
	v_lshrrev_b32_e32 v0, 26, v41
	v_cndmask_b32_e32 v2, v2, v3, vcc
	v_add_u32_e32 v0, v40, v0
	v_add_u32_e32 v3, 1, v1
	v_cmp_ge_u32_e32 vcc, v2, v9
	v_ashrrev_i32_e32 v23, 6, v0
	v_and_b32_e32 v0, 0xffffffc0, v0
	v_cndmask_b32_e32 v1, v1, v3, vcc
	v_sub_u32_e32 v25, v40, v0
	v_lshlrev_b32_e32 v0, 11, v23
	v_xor_b32_e32 v1, v1, v13
	v_lshl_add_u32 v0, v25, 4, v0
	v_sub_u32_e32 v13, v1, v13
	v_ashrrev_i32_e32 v1, 31, v0
	v_accvgpr_write_b32 a9, v1
	v_lshlrev_b32_e32 v22, 11, v12
	v_accvgpr_write_b32 a8, v0
	v_add_u32_e32 v0, 0xfffff800, v22
	v_ashrrev_i32_e32 v1, 31, v0
	v_add_co_u32_e32 v41, vcc, s65, v0
	v_lshlrev_b32_e32 v24, 10, v12
	v_addc_co_u32_e32 v42, vcc, 0, v1, vcc
	v_add_u32_e32 v0, 0xfffffc00, v24
	v_ashrrev_i32_e32 v1, 31, v0
	v_add_co_u32_e32 v43, vcc, s66, v0
	v_addc_co_u32_e32 v44, vcc, 0, v1, vcc
	v_subrev_u32_e32 v0, 64, v14
	v_ashrrev_i32_e32 v1, 31, v0
	v_add_co_u32_e32 v45, vcc, 64, v0
	v_accvgpr_read_b32 v0, a2
	v_cmp_gt_i32_e64 s[20:21], 1, v25
	v_addc_co_u32_e32 v55, vcc, 0, v1, vcc
	v_cmp_eq_u32_e64 s[22:23], v0, v11
	v_ashrrev_i32_e32 v9, 31, v22
	v_ashrrev_i32_e32 v11, 31, v24
	v_ashrrev_i32_e32 v47, 31, v14
	s_mov_b64 s[42:43], 0
	s_trap 2
                                        ; implicit-def: $vgpr26_vgpr27
	s_branch .LBB13_53
.LBB13_52:                              ;   in Loop: Header=BB13_53 Depth=2
	s_or_b64 exec, exec, s[24:25]
	s_waitcnt lgkmcnt(0)
	v_cmp_ne_u32_e32 vcc, 0, v16
	s_or_b64 s[42:43], vcc, s[42:43]
	v_add_u32_e32 v54, v54, v13
	s_andn2_b64 exec, exec, s[42:43]
	s_cbranch_execz .LBB13_223
.LBB13_53:                              ;   Parent Loop BB13_4 Depth=1
                                        ; =>  This Loop Header: Depth=2
                                        ;       Child Loop BB13_54 Depth 3
                                        ;       Child Loop BB13_63 Depth 3
	;; [unrolled: 1-line block ×12, first 2 shown]
	s_mov_b64 s[24:25], 0
	s_trap 2
.LBB13_54:                              ;   Parent Loop BB13_4 Depth=1
                                        ;     Parent Loop BB13_53 Depth=2
                                        ; =>    This Inner Loop Header: Depth=3
	ds_read_b32 v0, v0 offset:36
	s_waitcnt lgkmcnt(0)
	v_cmp_ne_u32_e32 vcc, 0, v0
	s_or_b64 s[24:25], vcc, s[24:25]
	s_andn2_b64 exec, exec, s[24:25]
	s_cbranch_execnz .LBB13_54
; %bb.55:                               ;   in Loop: Header=BB13_53 Depth=2
	s_or_b64 exec, exec, s[24:25]
	ds_read_b32 v16, v0 offset:32
	v_and_b32_e32 v0, 2, v0
	v_cmp_ne_u32_e32 vcc, 0, v0
	s_and_saveexec_b64 s[24:25], vcc
	s_xor_b64 s[24:25], exec, s[24:25]
	s_cbranch_execz .LBB13_67
; %bb.56:                               ;   in Loop: Header=BB13_53 Depth=2
	s_and_saveexec_b64 s[26:27], s[16:17]
	s_xor_b64 s[26:27], exec, s[26:27]
	s_cbranch_execz .LBB13_83
; %bb.57:                               ;   in Loop: Header=BB13_53 Depth=2
	s_and_saveexec_b64 s[28:29], s[18:19]
	s_cbranch_execz .LBB13_146
; %bb.58:                               ;   in Loop: Header=BB13_53 Depth=2
	s_mov_b64 s[46:47], exec
	v_mbcnt_lo_u32_b32 v0, s46, 0
	v_mbcnt_hi_u32_b32 v0, s47, v0
	v_cmp_eq_u32_e32 vcc, 0, v0
	s_waitcnt vmcnt(0) lgkmcnt(0)
	buffer_wbinvl1_vol
	s_and_saveexec_b64 s[44:45], vcc
	s_cbranch_execz .LBB13_60
; %bb.59:                               ;   in Loop: Header=BB13_53 Depth=2
	s_bcnt1_i32_b64 vcc_lo, s[46:47]
	v_mov_b32_e32 v0, vcc_lo
	v_mov_b32_e32 v1, v8
	ds_add_u64 v0, v[0:1]
	s_trap 2
.LBB13_60:                              ;   in Loop: Header=BB13_53 Depth=2
	s_or_b64 exec, exec, s[44:45]
	s_trap 2
	ds_read_b64 v[0:1], v0
	v_add_co_u32_e32 v18, vcc, 2, v18
	v_addc_co_u32_e32 v19, vcc, 0, v19, vcc
	s_waitcnt lgkmcnt(0)
	v_cmp_lt_u64_e32 vcc, v[0:1], v[18:19]
	s_and_saveexec_b64 s[44:45], vcc
	s_cbranch_execz .LBB13_145
; %bb.61:                               ;   in Loop: Header=BB13_53 Depth=2
	s_mov_b32 s56, 0
	s_mov_b64 s[46:47], 0
                                        ; implicit-def: $sgpr48_sgpr49
                                        ; implicit-def: $sgpr50_sgpr51
	s_branch .LBB13_63
.LBB13_62:                              ;   in Loop: Header=BB13_63 Depth=3
	s_or_b64 exec, exec, s[54:55]
	s_and_b64 vcc, exec, vcc
	s_or_b64 s[46:47], vcc, s[46:47]
	s_andn2_b64 vcc, s[48:49], exec
	s_and_b64 s[48:49], s[50:51], exec
	s_or_b64 s[48:49], vcc, s[48:49]
	s_andn2_b64 exec, exec, s[46:47]
	s_cbranch_execz .LBB13_143
.LBB13_63:                              ;   Parent Loop BB13_4 Depth=1
                                        ;     Parent Loop BB13_53 Depth=2
                                        ; =>    This Inner Loop Header: Depth=3
	s_add_i32 s56, s56, 1
	s_cmpk_lg_i32 s56, 0x2710
	s_cselect_b64 s[52:53], -1, 0
	s_and_b64 vcc, exec, s[52:53]
                                        ; implicit-def: $sgpr54_sgpr55
	s_cbranch_vccnz .LBB13_65
; %bb.64:                               ;   in Loop: Header=BB13_63 Depth=3
	s_trap 2
	ds_read_b64 v[0:1], v0
	s_andn2_b64 s[52:53], s[52:53], exec
	s_mov_b32 s56, 0
	s_mov_b64 s[54:55], -1
	s_waitcnt lgkmcnt(0)
	flat_load_dword v0, v[0:1] glc
	s_waitcnt vmcnt(0) lgkmcnt(0)
	buffer_invl2
	buffer_wbinvl1_vol
	v_cmp_eq_u32_e32 vcc, 0, v0
	s_and_b64 vcc, vcc, exec
	s_or_b64 s[52:53], s[52:53], vcc
.LBB13_65:                              ;   in Loop: Header=BB13_63 Depth=3
	s_andn2_b64 s[50:51], s[50:51], exec
	s_and_b64 s[54:55], s[54:55], exec
	s_mov_b64 vcc, -1
	s_or_b64 s[50:51], s[50:51], s[54:55]
	s_and_saveexec_b64 s[54:55], s[52:53]
	s_cbranch_execz .LBB13_62
; %bb.66:                               ;   in Loop: Header=BB13_63 Depth=3
	s_sleep 1
	s_trap 2
	ds_read_b64 v[0:1], v0
	s_andn2_b64 s[50:51], s[50:51], exec
	s_waitcnt lgkmcnt(0)
	v_cmp_ge_u64_e32 vcc, v[0:1], v[18:19]
	s_orn2_b64 vcc, vcc, exec
	s_branch .LBB13_62
.LBB13_67:                              ;   in Loop: Header=BB13_53 Depth=2
	s_andn2_saveexec_b64 s[44:45], s[24:25]
	s_cbranch_execz .LBB13_88
.LBB13_68:                              ;   in Loop: Header=BB13_53 Depth=2
	ds_read_b64 v[4:5], v0
	ds_read2_b64 v[0:3], v0 offset0:14 offset1:15
	v_and_b32_e32 v7, 36, v15
	v_cmp_ne_u32_e64 s[24:25], 0, v7
	v_pk_mov_b32 v[28:29], 0, 0
	s_waitcnt lgkmcnt(0)
	v_cmp_lt_i32_e32 vcc, -1, v4
	s_waitcnt lgkmcnt(0)
	ds_read_b32 v6, v0 offset:28
	ds_read2_b32 v[30:31], v0 offset0:5 offset1:6
	s_and_b64 s[46:47], vcc, s[24:25]
	s_and_saveexec_b64 s[24:25], s[46:47]
	s_cbranch_execz .LBB13_70
; %bb.69:                               ;   in Loop: Header=BB13_53 Depth=2
	s_trap 2
	ds_read_b64 v[26:27], v0
	v_mov_b32_e32 v29, s35
.LBB13_70:                              ;   in Loop: Header=BB13_53 Depth=2
	s_or_b64 exec, exec, s[24:25]
	v_and_b32_e32 v4, 24, v15
	v_cmp_lt_i32_e32 vcc, -1, v5
	v_cmp_ne_u32_e64 s[24:25], 0, v4
	s_and_b64 s[48:49], vcc, s[24:25]
	s_and_saveexec_b64 s[24:25], s[48:49]
	s_cbranch_execz .LBB13_72
; %bb.71:                               ;   in Loop: Header=BB13_53 Depth=2
	s_trap 2
	s_waitcnt lgkmcnt(0)
	ds_read_b64 v[26:27], v0
	v_mov_b32_e32 v29, s35
.LBB13_72:                              ;   in Loop: Header=BB13_53 Depth=2
	s_or_b64 exec, exec, s[24:25]
	v_and_b32_e32 v4, 4, v15
	v_cmp_ne_u32_e32 vcc, 0, v4
	s_waitcnt lgkmcnt(0)
	v_max_i32_e32 v46, 0, v6
	s_and_b64 s[26:27], s[46:47], vcc
	s_and_saveexec_b64 s[24:25], s[26:27]
	s_cbranch_execz .LBB13_96
; %bb.73:                               ;   in Loop: Header=BB13_53 Depth=2
	flat_load_dwordx2 v[4:5], v[28:29] offset:24
	flat_load_dword v10, v[28:29] offset:64
	ds_read2_b32 v[20:21], v0 offset0:2 offset1:4
	s_waitcnt lgkmcnt(0)
	v_add_co_u32_e32 v6, vcc, 1, v26
	v_addc_co_u32_e32 v7, vcc, 0, v27, vcc
	v_add_u32_e32 v17, v26, v21
	v_and_b32_e32 v17, 7, v17
	v_ashrrev_i32_e32 v21, 31, v20
	s_mov_b64 s[26:27], 0
	v_mov_b32_e32 v32, 0
                                        ; implicit-def: $sgpr52_sgpr53
                                        ; implicit-def: $sgpr50_sgpr51
	s_waitcnt vmcnt(0)
	v_mad_i64_i32 v[4:5], s[28:29], v17, v10, v[4:5]
	v_add_co_u32_e32 v4, vcc, v4, v20
	v_addc_co_u32_e32 v5, vcc, v5, v21, vcc
	ds_write_b64 v0, v[4:5] offset:584
                                        ; implicit-def: $sgpr28_sgpr29
	s_branch .LBB13_78
.LBB13_74:                              ;   in Loop: Header=BB13_78 Depth=3
	s_or_b64 exec, exec, s[62:63]
	v_mov_b32_e32 v4, 0
	s_orn2_b64 s[60:61], s[60:61], exec
.LBB13_75:                              ;   in Loop: Header=BB13_78 Depth=3
	s_or_b64 exec, exec, s[58:59]
	s_and_b64 s[58:59], s[60:61], exec
	v_mov_b32_e32 v32, v4
.LBB13_76:                              ;   in Loop: Header=BB13_78 Depth=3
	s_or_b64 exec, exec, s[56:57]
	s_xor_b64 vcc, s[58:59], -1
	s_andn2_b64 s[52:53], s[52:53], exec
	s_and_b64 vcc, vcc, exec
	s_andn2_b64 s[50:51], s[50:51], exec
	s_or_b64 s[52:53], s[52:53], vcc
                                        ; implicit-def: $vgpr4_vgpr5
.LBB13_77:                              ;   in Loop: Header=BB13_78 Depth=3
	s_or_b64 exec, exec, s[54:55]
	s_and_b64 vcc, exec, s[52:53]
	s_or_b64 s[26:27], vcc, s[26:27]
	s_andn2_b64 s[28:29], s[28:29], exec
	s_and_b64 vcc, s[50:51], exec
	s_or_b64 s[28:29], s[28:29], vcc
	s_andn2_b64 exec, exec, s[26:27]
	s_cbranch_execz .LBB13_89
.LBB13_78:                              ;   Parent Loop BB13_4 Depth=1
                                        ;     Parent Loop BB13_53 Depth=2
                                        ; =>    This Inner Loop Header: Depth=3
	flat_load_dwordx2 v[20:21], v[28:29] offset:48
	ds_read_b32 v4, v0 offset:16
	s_or_b64 s[50:51], s[50:51], exec
	s_or_b64 s[52:53], s[52:53], exec
	s_waitcnt lgkmcnt(0)
	v_ashrrev_i32_e32 v5, 31, v4
	v_add_co_u32_e32 v34, vcc, v6, v4
	v_addc_co_u32_e32 v35, vcc, v7, v5, vcc
	s_waitcnt vmcnt(0)
	v_cmp_lt_u64_e32 vcc, v[20:21], v[34:35]
	s_and_saveexec_b64 s[54:55], vcc
	s_cbranch_execz .LBB13_77
; %bb.79:                               ;   in Loop: Header=BB13_78 Depth=3
	flat_load_dwordx2 v[4:5], v[28:29] offset:40
	v_and_b32_e32 v10, 64, v15
	v_cmp_eq_u32_e32 vcc, 0, v10
	s_mov_b64 s[58:59], 0
	s_waitcnt vmcnt(0) lgkmcnt(0)
	flat_load_dwordx2 v[4:5], v[4:5] glc
	s_waitcnt vmcnt(0) lgkmcnt(0)
	flat_store_dwordx2 v[28:29], v[4:5] offset:48
	s_and_saveexec_b64 s[56:57], vcc
	s_cbranch_execz .LBB13_76
; %bb.80:                               ;   in Loop: Header=BB13_78 Depth=3
	v_add_u32_e32 v4, 1, v32
	v_cmp_lt_i32_e32 vcc, s34, v32
	s_mov_b64 s[60:61], -1
	s_and_saveexec_b64 s[58:59], vcc
	s_cbranch_execz .LBB13_75
; %bb.81:                               ;   in Loop: Header=BB13_78 Depth=3
	s_trap 2
	ds_read_b64 v[4:5], v0
	s_waitcnt vmcnt(0) lgkmcnt(0)
	flat_load_dword v4, v[4:5] glc
	s_waitcnt vmcnt(0) lgkmcnt(0)
	buffer_invl2
	buffer_wbinvl1_vol
	v_cmp_ne_u32_e32 vcc, 0, v4
	s_and_saveexec_b64 s[62:63], vcc
	s_cbranch_execz .LBB13_74
; %bb.82:                               ;   in Loop: Header=BB13_78 Depth=3
	v_or_b32_e32 v15, 64, v15
	s_xor_b64 s[60:61], exec, -1
	ds_write_b32 v0, v4
	s_trap 2
	s_branch .LBB13_74
.LBB13_83:                              ;   in Loop: Header=BB13_53 Depth=2
	s_andn2_saveexec_b64 s[26:27], s[26:27]
	s_cbranch_execz .LBB13_147
.LBB13_84:                              ;   in Loop: Header=BB13_53 Depth=2
	s_waitcnt vmcnt(0) lgkmcnt(0)
	buffer_wbinvl1_vol
	s_barrier
	s_or_b64 exec, exec, s[26:27]
	s_and_saveexec_b64 s[26:27], s[16:17]
	s_xor_b64 s[26:27], exec, s[26:27]
	s_cbranch_execnz .LBB13_148
.LBB13_85:                              ;   in Loop: Header=BB13_53 Depth=2
	s_andn2_saveexec_b64 s[26:27], s[26:27]
	s_cbranch_execz .LBB13_87
.LBB13_86:                              ;   in Loop: Header=BB13_53 Depth=2
	s_waitcnt vmcnt(0) lgkmcnt(0)
	buffer_wbinvl1_vol
	s_barrier
.LBB13_87:                              ;   in Loop: Header=BB13_53 Depth=2
	s_or_b64 exec, exec, s[26:27]
	s_andn2_saveexec_b64 s[44:45], s[24:25]
	s_cbranch_execnz .LBB13_68
.LBB13_88:                              ;   in Loop: Header=BB13_53 Depth=2
	s_or_b64 exec, exec, s[44:45]
	s_and_saveexec_b64 s[24:25], s[22:23]
	s_cbranch_execz .LBB13_52
	s_branch .LBB13_216
.LBB13_89:                              ;   in Loop: Header=BB13_53 Depth=2
	s_or_b64 exec, exec, s[26:27]
	s_xor_b64 s[26:27], s[28:29], -1
	s_and_saveexec_b64 s[28:29], s[26:27]
	s_xor_b64 s[26:27], exec, s[28:29]
	s_cbranch_execz .LBB13_91
; %bb.90:                               ;   in Loop: Header=BB13_53 Depth=2
	ds_read_b32 v4, v0 offset:16
	s_waitcnt lgkmcnt(0)
	v_ashrrev_i32_e32 v5, 31, v4
.LBB13_91:                              ;   in Loop: Header=BB13_53 Depth=2
	s_or_b64 exec, exec, s[26:27]
	flat_load_dwordx3 v[32:34], v[28:29] offset:56
	ds_read_b32 v6, v0 offset:8
	v_add_co_u32_e32 v7, vcc, v4, v26
	v_addc_co_u32_e32 v10, vcc, v5, v27, vcc
	s_waitcnt lgkmcnt(0)
	v_add_u32_e32 v4, v6, v46
	v_ashrrev_i32_e32 v5, 31, v4
	s_waitcnt vmcnt(0)
	v_ashrrev_i32_e32 v6, 31, v34
	v_mad_u64_u32 v[4:5], s[26:27], v7, v34, v[4:5]
	v_mul_lo_u32 v6, v7, v6
	v_mul_lo_u32 v7, v10, v34
	v_add3_u32 v5, v7, v5, v6
	v_cmp_ge_u64_e32 vcc, v[32:33], v[4:5]
	s_and_saveexec_b64 s[26:27], vcc
	s_xor_b64 s[26:27], exec, s[26:27]
	s_cbranch_execz .LBB13_93
; %bb.92:                               ;   in Loop: Header=BB13_53 Depth=2
	ds_read_b64 v[4:5], v0 offset:136
	s_waitcnt lgkmcnt(0)
	ds_write_b64 v0, v[4:5] offset:208
.LBB13_93:                              ;   in Loop: Header=BB13_53 Depth=2
	s_andn2_saveexec_b64 s[26:27], s[26:27]
	s_cbranch_execz .LBB13_95
; %bb.94:                               ;   in Loop: Header=BB13_53 Depth=2
	ds_read_b64 v[4:5], v0 offset:48
	s_waitcnt lgkmcnt(0)
	v_add_co_u32_e32 v4, vcc, v2, v4
	v_addc_co_u32_e32 v5, vcc, v3, v5, vcc
	ds_write_b64 v0, v[4:5]
.LBB13_95:                              ;   in Loop: Header=BB13_53 Depth=2
	s_or_b64 exec, exec, s[26:27]
.LBB13_96:                              ;   in Loop: Header=BB13_53 Depth=2
	s_or_b64 exec, exec, s[24:25]
	v_and_b32_e32 v4, 8, v15
	v_cmp_ne_u32_e32 vcc, 0, v4
	s_and_b64 s[26:27], s[48:49], vcc
	s_and_saveexec_b64 s[24:25], s[26:27]
	s_cbranch_execz .LBB13_108
; %bb.97:                               ;   in Loop: Header=BB13_53 Depth=2
	s_waitcnt lgkmcnt(0)
	v_add_co_u32_e32 v4, vcc, 1, v26
	v_addc_co_u32_e32 v5, vcc, 0, v27, vcc
	s_mov_b64 s[26:27], 0
	v_mov_b32_e32 v6, 0
                                        ; implicit-def: $sgpr28_sgpr29
	s_branch .LBB13_102
.LBB13_98:                              ;   in Loop: Header=BB13_102 Depth=3
	s_or_b64 exec, exec, s[58:59]
	v_mov_b32_e32 v7, 0
	s_orn2_b64 s[56:57], s[56:57], exec
.LBB13_99:                              ;   in Loop: Header=BB13_102 Depth=3
	s_or_b64 exec, exec, s[54:55]
	s_and_b64 s[54:55], s[56:57], exec
	v_mov_b32_e32 v6, v7
.LBB13_100:                             ;   in Loop: Header=BB13_102 Depth=3
	s_or_b64 exec, exec, s[52:53]
	s_xor_b64 vcc, s[54:55], -1
	s_andn2_b64 s[28:29], s[28:29], exec
	s_and_b64 vcc, vcc, exec
	s_or_b64 s[28:29], s[28:29], vcc
.LBB13_101:                             ;   in Loop: Header=BB13_102 Depth=3
	s_or_b64 exec, exec, s[50:51]
	s_and_b64 vcc, exec, s[28:29]
	s_or_b64 s[26:27], vcc, s[26:27]
	s_andn2_b64 exec, exec, s[26:27]
	s_cbranch_execz .LBB13_107
.LBB13_102:                             ;   Parent Loop BB13_4 Depth=1
                                        ;     Parent Loop BB13_53 Depth=2
                                        ; =>    This Inner Loop Header: Depth=3
	flat_load_dwordx2 v[20:21], v[28:29] offset:48
	s_or_b64 s[28:29], s[28:29], exec
	s_waitcnt vmcnt(0) lgkmcnt(0)
	v_add_co_u32_e32 v20, vcc, 8, v20
	v_addc_co_u32_e32 v21, vcc, 0, v21, vcc
	v_cmp_lt_u64_e32 vcc, v[20:21], v[4:5]
	s_and_saveexec_b64 s[50:51], vcc
	s_cbranch_execz .LBB13_101
; %bb.103:                              ;   in Loop: Header=BB13_102 Depth=3
	flat_load_dwordx2 v[20:21], v[28:29] offset:32
	v_and_b32_e32 v7, 64, v15
	v_cmp_eq_u32_e32 vcc, 0, v7
	s_mov_b64 s[54:55], 0
	s_waitcnt vmcnt(0) lgkmcnt(0)
	flat_load_dwordx2 v[20:21], v[20:21] glc
	s_waitcnt vmcnt(0) lgkmcnt(0)
	flat_store_dwordx2 v[28:29], v[20:21] offset:48
	s_and_saveexec_b64 s[52:53], vcc
	s_cbranch_execz .LBB13_100
; %bb.104:                              ;   in Loop: Header=BB13_102 Depth=3
	v_add_u32_e32 v7, 1, v6
	v_cmp_lt_i32_e32 vcc, s34, v6
	s_mov_b64 s[56:57], -1
	s_and_saveexec_b64 s[54:55], vcc
	s_cbranch_execz .LBB13_99
; %bb.105:                              ;   in Loop: Header=BB13_102 Depth=3
	s_trap 2
	ds_read_b64 v[6:7], v0
	s_waitcnt vmcnt(0) lgkmcnt(0)
	flat_load_dword v6, v[6:7] glc
	s_waitcnt vmcnt(0) lgkmcnt(0)
	buffer_invl2
	buffer_wbinvl1_vol
	v_cmp_ne_u32_e32 vcc, 0, v6
	s_and_saveexec_b64 s[58:59], vcc
	s_cbranch_execz .LBB13_98
; %bb.106:                              ;   in Loop: Header=BB13_102 Depth=3
	v_or_b32_e32 v15, 64, v15
	s_xor_b64 s[56:57], exec, -1
	ds_write_b32 v0, v6
	s_trap 2
	s_branch .LBB13_98
.LBB13_107:                             ;   in Loop: Header=BB13_53 Depth=2
	s_or_b64 exec, exec, s[26:27]
	flat_load_dwordx2 v[4:5], v[28:29] offset:24
	flat_load_dword v6, v[28:29] offset:64
	ds_read_b32 v7, v0 offset:12
	v_and_b32_e32 v10, 7, v26
	s_waitcnt lgkmcnt(0)
	v_ashrrev_i32_e32 v17, 31, v7
	s_waitcnt vmcnt(0)
	v_mad_i64_i32 v[4:5], s[26:27], v10, v6, v[4:5]
	v_add_co_u32_e32 v4, vcc, v4, v7
	v_addc_co_u32_e32 v5, vcc, v5, v17, vcc
	ds_write_b64 v0, v[4:5] offset:584
.LBB13_108:                             ;   in Loop: Header=BB13_53 Depth=2
	s_or_b64 exec, exec, s[24:25]
	s_trap 2
	ds_read_b32 v4, v0
	ds_read_b64 v[32:33], v0
	v_and_b32_e32 v5, 1, v15
	v_cmp_eq_u32_e64 s[24:25], 1, v5
	s_waitcnt lgkmcnt(0)
	v_cmp_gt_i32_e32 vcc, 0, v4
	s_and_b64 s[28:29], vcc, s[24:25]
	s_and_saveexec_b64 s[26:27], s[28:29]
	s_cbranch_execz .LBB13_120
; %bb.109:                              ;   in Loop: Header=BB13_53 Depth=2
	ds_read_b64 v[4:5], v0 offset:40
	s_waitcnt lgkmcnt(0)
	v_add_co_u32_e32 v0, vcc, v0, v4
	v_addc_co_u32_e32 v1, vcc, v1, v5, vcc
	v_add_co_u32_e32 v4, vcc, v4, v46
	v_addc_co_u32_e32 v5, vcc, 0, v5, vcc
	v_cmp_lt_u64_e32 vcc, v[32:33], v[4:5]
	ds_write_b64 v0, v[0:1] offset:584
	s_and_saveexec_b64 s[28:29], vcc
	s_cbranch_execz .LBB13_111
; %bb.110:                              ;   in Loop: Header=BB13_53 Depth=2
	ds_read_b64 v[0:1], v0 offset:48
	v_pk_mov_b32 v[32:33], v[4:5], v[4:5] op_sel:[0,1]
	s_waitcnt lgkmcnt(0)
	v_add_co_u32_e32 v0, vcc, v2, v0
	v_addc_co_u32_e32 v1, vcc, v3, v1, vcc
.LBB13_111:                             ;   in Loop: Header=BB13_53 Depth=2
	s_or_b64 exec, exec, s[28:29]
	ds_write_b64 v0, v[0:1]
	s_or_b64 exec, exec, s[26:27]
	s_and_saveexec_b64 s[26:27], s[16:17]
	s_xor_b64 s[26:27], exec, s[26:27]
	s_cbranch_execnz .LBB13_121
.LBB13_112:                             ;   in Loop: Header=BB13_53 Depth=2
	s_andn2_saveexec_b64 s[26:27], s[26:27]
	s_cbranch_execz .LBB13_114
.LBB13_113:                             ;   in Loop: Header=BB13_53 Depth=2
	s_waitcnt vmcnt(0) lgkmcnt(0)
	buffer_wbinvl1_vol
	s_barrier
.LBB13_114:                             ;   in Loop: Header=BB13_53 Depth=2
	s_or_b64 exec, exec, s[26:27]
	ds_read_b32 v5, v0 offset:4
	ds_read2_b64 v[0:3], v0 offset0:17 offset1:26
	s_trap 2
	s_mov_b64 s[28:29], -1
	s_waitcnt lgkmcnt(0)
	ds_read_b32 v4, v0
	s_and_saveexec_b64 s[26:27], s[20:21]
	s_cbranch_execz .LBB13_116
; %bb.115:                              ;   in Loop: Header=BB13_53 Depth=2
	ds_read_b32 v6, v0 offset:584
	s_waitcnt lgkmcnt(0)
	v_and_b32_e32 v6, 15, v6
	v_cmp_eq_u32_e32 vcc, 0, v6
	s_orn2_b64 s[28:29], vcc, exec
.LBB13_116:                             ;   in Loop: Header=BB13_53 Depth=2
	s_or_b64 exec, exec, s[26:27]
	v_cmp_gt_i32_e32 vcc, 0, v5
	v_cndmask_b32_e64 v6, 2, 1, vcc
	v_lshrrev_b32_e32 v5, 28, v5
	v_cmp_eq_u64_e32 vcc, v[0:1], v[2:3]
	v_and_b32_e32 v5, 8, v5
	v_subbrev_co_u32_e32 v58, vcc, 0, v6, vcc
	v_add_u32_e32 v57, v0, v5
	v_cmp_lt_i32_e32 vcc, v25, v58
	s_and_saveexec_b64 s[26:27], vcc
	s_cbranch_execz .LBB13_118
; %bb.117:                              ;   in Loop: Header=BB13_53 Depth=2
	v_lshl_add_u32 v0, v25, 3, v57
	ds_read_b32 v0, v0 offset:584
	s_waitcnt lgkmcnt(0)
	v_and_b32_e32 v0, 15, v0
	v_cmp_eq_u32_e32 vcc, 0, v0
	s_and_b64 vcc, s[28:29], vcc
	s_andn2_b64 s[28:29], s[28:29], exec
	s_and_b64 vcc, vcc, exec
	s_or_b64 s[28:29], s[28:29], vcc
.LBB13_118:                             ;   in Loop: Header=BB13_53 Depth=2
	s_or_b64 exec, exec, s[26:27]
	s_xor_b64 s[28:29], s[28:29], -1
	s_waitcnt lgkmcnt(0)
	v_cmp_eq_u32_e32 vcc, 0, v4
	v_cndmask_b32_e64 v0, 0, 1, s[28:29]
	v_mov_b32_e32 v34, 0
	v_cndmask_b32_e32 v59, 0, v46, vcc
	s_mov_b64 s[26:27], -1
	;;#ASMSTART
	;;#ASMEND
	v_cmp_ne_u32_e32 vcc, 0, v0
	s_cbranch_vccz .LBB13_131
; %bb.119:                              ;   in Loop: Header=BB13_53 Depth=2
	v_mov_b32_e32 v35, v40
	v_mov_b32_e32 v4, v23
	s_and_saveexec_b64 s[28:29], s[26:27]
	s_cbranch_execnz .LBB13_171
	s_branch .LBB13_183
.LBB13_120:                             ;   in Loop: Header=BB13_53 Depth=2
	s_or_b64 exec, exec, s[26:27]
	s_and_saveexec_b64 s[26:27], s[16:17]
	s_xor_b64 s[26:27], exec, s[26:27]
	s_cbranch_execz .LBB13_112
.LBB13_121:                             ;   in Loop: Header=BB13_53 Depth=2
	s_and_saveexec_b64 s[28:29], s[18:19]
	s_cbranch_execz .LBB13_161
; %bb.122:                              ;   in Loop: Header=BB13_53 Depth=2
	s_mov_b64 s[52:53], exec
	v_mbcnt_lo_u32_b32 v0, s52, 0
	v_mbcnt_hi_u32_b32 v0, s53, v0
	v_cmp_eq_u32_e32 vcc, 0, v0
	s_waitcnt vmcnt(0) lgkmcnt(0)
	buffer_wbinvl1_vol
	s_and_saveexec_b64 s[50:51], vcc
	s_cbranch_execz .LBB13_124
; %bb.123:                              ;   in Loop: Header=BB13_53 Depth=2
	s_bcnt1_i32_b64 vcc_lo, s[52:53]
	v_mov_b32_e32 v0, vcc_lo
	v_mov_b32_e32 v1, v8
	ds_add_u64 v0, v[0:1]
	s_trap 2
.LBB13_124:                             ;   in Loop: Header=BB13_53 Depth=2
	s_or_b64 exec, exec, s[50:51]
	s_trap 2
	ds_read_b64 v[0:1], v0
	v_add_co_u32_e32 v18, vcc, 2, v18
	v_addc_co_u32_e32 v19, vcc, 0, v19, vcc
	s_waitcnt lgkmcnt(0)
	v_cmp_lt_u64_e32 vcc, v[0:1], v[18:19]
	s_and_saveexec_b64 s[50:51], vcc
	s_cbranch_execz .LBB13_160
; %bb.125:                              ;   in Loop: Header=BB13_53 Depth=2
	s_mov_b32 s62, 0
	s_mov_b64 s[52:53], 0
                                        ; implicit-def: $sgpr54_sgpr55
                                        ; implicit-def: $sgpr56_sgpr57
	s_branch .LBB13_127
.LBB13_126:                             ;   in Loop: Header=BB13_127 Depth=3
	s_or_b64 exec, exec, s[60:61]
	s_and_b64 vcc, exec, vcc
	s_or_b64 s[52:53], vcc, s[52:53]
	s_andn2_b64 vcc, s[54:55], exec
	s_and_b64 s[54:55], s[56:57], exec
	s_or_b64 s[54:55], vcc, s[54:55]
	s_andn2_b64 exec, exec, s[52:53]
	s_cbranch_execz .LBB13_158
.LBB13_127:                             ;   Parent Loop BB13_4 Depth=1
                                        ;     Parent Loop BB13_53 Depth=2
                                        ; =>    This Inner Loop Header: Depth=3
	s_add_i32 s62, s62, 1
	s_cmpk_lg_i32 s62, 0x2710
	s_cselect_b64 s[58:59], -1, 0
	s_and_b64 vcc, exec, s[58:59]
                                        ; implicit-def: $sgpr60_sgpr61
	s_cbranch_vccnz .LBB13_129
; %bb.128:                              ;   in Loop: Header=BB13_127 Depth=3
	s_trap 2
	ds_read_b64 v[0:1], v0
	s_andn2_b64 s[58:59], s[58:59], exec
	s_mov_b32 s62, 0
	s_mov_b64 s[60:61], -1
	s_waitcnt lgkmcnt(0)
	flat_load_dword v0, v[0:1] glc
	s_waitcnt vmcnt(0) lgkmcnt(0)
	buffer_invl2
	buffer_wbinvl1_vol
	v_cmp_eq_u32_e32 vcc, 0, v0
	s_and_b64 vcc, vcc, exec
	s_or_b64 s[58:59], s[58:59], vcc
.LBB13_129:                             ;   in Loop: Header=BB13_127 Depth=3
	s_andn2_b64 s[56:57], s[56:57], exec
	s_and_b64 s[60:61], s[60:61], exec
	s_mov_b64 vcc, -1
	s_or_b64 s[56:57], s[56:57], s[60:61]
	s_and_saveexec_b64 s[60:61], s[58:59]
	s_cbranch_execz .LBB13_126
; %bb.130:                              ;   in Loop: Header=BB13_127 Depth=3
	s_sleep 1
	s_trap 2
	ds_read_b64 v[0:1], v0
	s_andn2_b64 s[56:57], s[56:57], exec
	s_waitcnt lgkmcnt(0)
	v_cmp_ge_u64_e32 vcc, v[0:1], v[18:19]
	s_orn2_b64 vcc, vcc, exec
	s_branch .LBB13_126
.LBB13_131:                             ;   in Loop: Header=BB13_53 Depth=2
	v_lshrrev_b32_e32 v0, 11, v59
	v_sub_u32_e32 v60, v0, v23
	v_cmp_lt_i32_e32 vcc, 0, v60
	s_and_saveexec_b64 s[28:29], vcc
	s_cbranch_execz .LBB13_137
; %bb.132:                              ;   in Loop: Header=BB13_53 Depth=2
	ds_read_b64 v[34:35], v0 offset:584
	ds_read_b64 v[36:37], v57 offset:584
	v_accvgpr_read_b32 v49, a9
	v_accvgpr_read_b32 v39, a9
	v_cmp_lt_u32_e32 vcc, 1, v58
	s_mov_b64 s[50:51], 0
	v_accvgpr_read_b32 v48, a8
	v_accvgpr_read_b32 v38, a8
	s_branch .LBB13_134
.LBB13_133:                             ;   in Loop: Header=BB13_134 Depth=3
	s_or_b64 exec, exec, s[52:53]
	v_add_co_u32_e64 v48, s[26:27], v48, v22
	v_sub_u32_e32 v60, v60, v12
	v_addc_co_u32_e64 v49, s[26:27], v49, v9, s[26:27]
	v_cmp_gt_i32_e64 s[26:27], 1, v60
	s_or_b64 s[50:51], s[26:27], s[50:51]
	v_add_co_u32_e64 v38, s[26:27], v38, v41
	v_addc_co_u32_e64 v39, s[26:27], v39, v42, s[26:27]
	s_andn2_b64 exec, exec, s[50:51]
	s_cbranch_execz .LBB13_136
.LBB13_134:                             ;   Parent Loop BB13_4 Depth=1
                                        ;     Parent Loop BB13_53 Depth=2
                                        ; =>    This Inner Loop Header: Depth=3
	s_waitcnt lgkmcnt(0)
	v_add_co_u32_e64 v0, s[26:27], v34, v38
	v_addc_co_u32_e64 v1, s[26:27], v35, v39, s[26:27]
	global_load_dwordx4 v[4:7], v[0:1], off glc slc
	s_nop 0
	global_load_dwordx4 v[0:3], v[0:1], off offset:1024 glc slc
	s_waitcnt lgkmcnt(0)
	v_add_co_u32_e64 v20, s[26:27], v36, v38
	v_addc_co_u32_e64 v21, s[26:27], v37, v39, s[26:27]
	s_waitcnt vmcnt(0)
	global_store_dwordx4 v[20:21], v[4:7], off glc slc
	s_waitcnt vmcnt(1)
	global_store_dwordx4 v[20:21], v[0:3], off offset:1024 glc slc
	s_and_saveexec_b64 s[52:53], vcc
	s_cbranch_execz .LBB13_133
; %bb.135:                              ;   in Loop: Header=BB13_134 Depth=3
	ds_read_b64 v[20:21], v57 offset:592
	s_waitcnt lgkmcnt(0)
	v_add_co_u32_e64 v20, s[26:27], v48, v20
	v_addc_co_u32_e64 v21, s[26:27], v49, v21, s[26:27]
	global_store_dwordx4 v[20:21], v[4:7], off glc slc
	global_store_dwordx4 v[20:21], v[0:3], off offset:1024 glc slc
	s_branch .LBB13_133
.LBB13_136:                             ;   in Loop: Header=BB13_53 Depth=2
	s_or_b64 exec, exec, s[50:51]
.LBB13_137:                             ;   in Loop: Header=BB13_53 Depth=2
	s_or_b64 exec, exec, s[28:29]
	v_and_b32_e32 v0, 0x7ffff800, v59
	v_cmp_ne_u32_e32 vcc, v0, v59
	s_mov_b64 s[26:27], 0
	v_mov_b32_e32 v34, 0
                                        ; implicit-def: $vgpr35
                                        ; implicit-def: $vgpr4
	s_and_saveexec_b64 s[50:51], vcc
	s_cbranch_execz .LBB13_170
; %bb.138:                              ;   in Loop: Header=BB13_53 Depth=2
	v_lshlrev_b32_e32 v1, 6, v60
	v_sub_u32_e32 v1, v25, v1
	v_ashrrev_i32_e32 v3, 31, v1
	v_lshrrev_b32_e32 v3, 26, v3
	v_add_u32_e32 v3, v1, v3
	v_ashrrev_i32_e32 v4, 6, v3
	v_and_b32_e32 v3, 0xffffffc0, v3
	v_and_b32_e32 v2, 0x7ff, v59
	v_sub_u32_e32 v38, v1, v3
	v_and_b32_e32 v5, 0x400, v59
	v_lshlrev_b32_e32 v1, 4, v38
	v_sub_u32_e32 v48, v2, v5
	v_lshl_add_u32 v1, v4, 10, v1
	v_bfe_u32 v3, v59, 10, 1
	v_cmp_lt_i32_e32 vcc, 15, v48
	v_sub_u32_e32 v49, v2, v1
	v_addc_co_u32_e64 v2, s[26:27], 0, v3, vcc
	v_sub_u32_e32 v39, v2, v4
	v_cmp_lt_i32_e64 s[26:27], 15, v49
	s_and_saveexec_b64 s[52:53], s[26:27]
	s_cbranch_execz .LBB13_167
; %bb.139:                              ;   in Loop: Header=BB13_53 Depth=2
	ds_read_b64 v[6:7], v57 offset:584
	ds_read_b64 v[34:35], v0 offset:584
	v_add_u32_e32 v4, v1, v0
	v_ashrrev_i32_e32 v5, 31, v4
	v_cmp_lt_i32_e64 s[26:27], 1, v58
	s_mov_b64 s[54:55], 0
	v_pk_mov_b32 v[36:37], v[4:5], v[4:5] op_sel:[0,1]
	s_branch .LBB13_141
.LBB13_140:                             ;   in Loop: Header=BB13_141 Depth=3
	s_or_b64 exec, exec, s[56:57]
	v_add_co_u32_e64 v36, s[28:29], v36, v24
	v_sub_u32_e32 v49, v49, v24
	v_addc_co_u32_e64 v37, s[28:29], v37, v11, s[28:29]
	v_cmp_gt_i32_e64 s[28:29], 16, v49
	s_or_b64 s[54:55], s[28:29], s[54:55]
	v_add_co_u32_e64 v4, s[28:29], v4, v43
	v_sub_u32_e32 v39, v39, v12
	v_addc_co_u32_e64 v5, s[28:29], v5, v44, s[28:29]
	s_andn2_b64 exec, exec, s[54:55]
	s_cbranch_execz .LBB13_166
.LBB13_141:                             ;   Parent Loop BB13_4 Depth=1
                                        ;     Parent Loop BB13_53 Depth=2
                                        ; =>    This Inner Loop Header: Depth=3
	s_waitcnt lgkmcnt(0)
	v_add_co_u32_e64 v0, s[28:29], v34, v4
	v_addc_co_u32_e64 v1, s[28:29], v35, v5, s[28:29]
	global_load_dwordx4 v[0:3], v[0:1], off glc slc
	v_add_co_u32_e64 v20, s[28:29], v6, v4
	v_addc_co_u32_e64 v21, s[28:29], v7, v5, s[28:29]
	s_waitcnt vmcnt(0)
	global_store_dwordx4 v[20:21], v[0:3], off glc slc
	s_and_saveexec_b64 s[56:57], s[26:27]
	s_cbranch_execz .LBB13_140
; %bb.142:                              ;   in Loop: Header=BB13_141 Depth=3
	ds_read_b64 v[20:21], v57 offset:592
	s_waitcnt lgkmcnt(0)
	v_add_co_u32_e64 v20, s[28:29], v36, v20
	v_addc_co_u32_e64 v21, s[28:29], v37, v21, s[28:29]
	global_store_dwordx4 v[20:21], v[0:3], off glc slc
	s_branch .LBB13_140
.LBB13_143:                             ;   in Loop: Header=BB13_53 Depth=2
	s_or_b64 exec, exec, s[46:47]
	s_and_saveexec_b64 vcc, s[48:49]
	s_xor_b64 vcc, exec, vcc
	s_cbranch_execz .LBB13_145
; %bb.144:                              ;   in Loop: Header=BB13_53 Depth=2
	ds_write_b32 v0, v51
	s_trap 2
.LBB13_145:                             ;   in Loop: Header=BB13_53 Depth=2
	s_or_b64 exec, exec, s[44:45]
	;;#ASMSTART
	s_wakeup
	;;#ASMEND
.LBB13_146:                             ;   in Loop: Header=BB13_53 Depth=2
	s_or_b64 exec, exec, s[28:29]
	s_andn2_saveexec_b64 s[26:27], s[26:27]
	s_cbranch_execnz .LBB13_84
.LBB13_147:                             ;   in Loop: Header=BB13_53 Depth=2
	s_or_b64 exec, exec, s[26:27]
	s_and_saveexec_b64 s[26:27], s[16:17]
	s_xor_b64 s[26:27], exec, s[26:27]
	s_cbranch_execz .LBB13_85
.LBB13_148:                             ;   in Loop: Header=BB13_53 Depth=2
	s_and_saveexec_b64 s[28:29], s[18:19]
	s_cbranch_execz .LBB13_165
; %bb.149:                              ;   in Loop: Header=BB13_53 Depth=2
	s_mov_b64 s[46:47], exec
	v_mbcnt_lo_u32_b32 v0, s46, 0
	v_mbcnt_hi_u32_b32 v0, s47, v0
	v_cmp_eq_u32_e32 vcc, 0, v0
	s_waitcnt vmcnt(0) lgkmcnt(0)
	buffer_wbinvl1_vol
	s_and_saveexec_b64 s[44:45], vcc
	s_cbranch_execz .LBB13_151
; %bb.150:                              ;   in Loop: Header=BB13_53 Depth=2
	s_bcnt1_i32_b64 vcc_lo, s[46:47]
	v_mov_b32_e32 v0, vcc_lo
	v_mov_b32_e32 v1, v8
	ds_add_u64 v0, v[0:1]
	s_trap 2
.LBB13_151:                             ;   in Loop: Header=BB13_53 Depth=2
	s_or_b64 exec, exec, s[44:45]
	s_trap 2
	ds_read_b64 v[0:1], v0
	v_add_co_u32_e32 v18, vcc, 2, v18
	v_addc_co_u32_e32 v19, vcc, 0, v19, vcc
	s_waitcnt lgkmcnt(0)
	v_cmp_lt_u64_e32 vcc, v[0:1], v[18:19]
	s_and_saveexec_b64 s[44:45], vcc
	s_cbranch_execz .LBB13_164
; %bb.152:                              ;   in Loop: Header=BB13_53 Depth=2
	s_mov_b32 s56, 0
	s_mov_b64 s[46:47], 0
                                        ; implicit-def: $sgpr48_sgpr49
                                        ; implicit-def: $sgpr50_sgpr51
	s_branch .LBB13_154
.LBB13_153:                             ;   in Loop: Header=BB13_154 Depth=3
	s_or_b64 exec, exec, s[54:55]
	s_and_b64 vcc, exec, vcc
	s_or_b64 s[46:47], vcc, s[46:47]
	s_andn2_b64 vcc, s[48:49], exec
	s_and_b64 s[48:49], s[50:51], exec
	s_or_b64 s[48:49], vcc, s[48:49]
	s_andn2_b64 exec, exec, s[46:47]
	s_cbranch_execz .LBB13_162
.LBB13_154:                             ;   Parent Loop BB13_4 Depth=1
                                        ;     Parent Loop BB13_53 Depth=2
                                        ; =>    This Inner Loop Header: Depth=3
	s_add_i32 s56, s56, 1
	s_cmpk_lg_i32 s56, 0x2710
	s_cselect_b64 s[52:53], -1, 0
	s_and_b64 vcc, exec, s[52:53]
                                        ; implicit-def: $sgpr54_sgpr55
	s_cbranch_vccnz .LBB13_156
; %bb.155:                              ;   in Loop: Header=BB13_154 Depth=3
	s_trap 2
	ds_read_b64 v[0:1], v0
	s_andn2_b64 s[52:53], s[52:53], exec
	s_mov_b32 s56, 0
	s_mov_b64 s[54:55], -1
	s_waitcnt lgkmcnt(0)
	flat_load_dword v0, v[0:1] glc
	s_waitcnt vmcnt(0) lgkmcnt(0)
	buffer_invl2
	buffer_wbinvl1_vol
	v_cmp_eq_u32_e32 vcc, 0, v0
	s_and_b64 vcc, vcc, exec
	s_or_b64 s[52:53], s[52:53], vcc
.LBB13_156:                             ;   in Loop: Header=BB13_154 Depth=3
	s_andn2_b64 s[50:51], s[50:51], exec
	s_and_b64 s[54:55], s[54:55], exec
	s_mov_b64 vcc, -1
	s_or_b64 s[50:51], s[50:51], s[54:55]
	s_and_saveexec_b64 s[54:55], s[52:53]
	s_cbranch_execz .LBB13_153
; %bb.157:                              ;   in Loop: Header=BB13_154 Depth=3
	s_sleep 1
	s_trap 2
	ds_read_b64 v[0:1], v0
	s_andn2_b64 s[50:51], s[50:51], exec
	s_waitcnt lgkmcnt(0)
	v_cmp_ge_u64_e32 vcc, v[0:1], v[18:19]
	s_orn2_b64 vcc, vcc, exec
	s_branch .LBB13_153
.LBB13_158:                             ;   in Loop: Header=BB13_53 Depth=2
	s_or_b64 exec, exec, s[52:53]
	s_and_saveexec_b64 vcc, s[54:55]
	s_xor_b64 vcc, exec, vcc
	s_cbranch_execz .LBB13_160
; %bb.159:                              ;   in Loop: Header=BB13_53 Depth=2
	ds_write_b32 v0, v51
	s_trap 2
.LBB13_160:                             ;   in Loop: Header=BB13_53 Depth=2
	s_or_b64 exec, exec, s[50:51]
	;;#ASMSTART
	s_wakeup
	;;#ASMEND
.LBB13_161:                             ;   in Loop: Header=BB13_53 Depth=2
	s_or_b64 exec, exec, s[28:29]
	s_andn2_saveexec_b64 s[26:27], s[26:27]
	s_cbranch_execnz .LBB13_113
	s_branch .LBB13_114
.LBB13_162:                             ;   in Loop: Header=BB13_53 Depth=2
	s_or_b64 exec, exec, s[46:47]
	s_and_saveexec_b64 vcc, s[48:49]
	s_xor_b64 vcc, exec, vcc
	s_cbranch_execz .LBB13_164
; %bb.163:                              ;   in Loop: Header=BB13_53 Depth=2
	ds_write_b32 v0, v51
	s_trap 2
.LBB13_164:                             ;   in Loop: Header=BB13_53 Depth=2
	s_or_b64 exec, exec, s[44:45]
	;;#ASMSTART
	s_wakeup
	;;#ASMEND
.LBB13_165:                             ;   in Loop: Header=BB13_53 Depth=2
	s_or_b64 exec, exec, s[28:29]
	s_andn2_saveexec_b64 s[26:27], s[26:27]
	s_cbranch_execnz .LBB13_86
	s_branch .LBB13_87
.LBB13_166:                             ;   in Loop: Header=BB13_53 Depth=2
	s_or_b64 exec, exec, s[54:55]
.LBB13_167:                             ;   in Loop: Header=BB13_53 Depth=2
	s_or_b64 exec, exec, s[52:53]
	v_and_b32_e32 v1, 15, v59
	v_cndmask_b32_e32 v0, v48, v1, vcc
	v_cmp_ne_u32_e64 s[26:27], 0, v0
	s_mov_b64 s[28:29], 0
	v_mov_b32_e32 v34, 0
                                        ; implicit-def: $vgpr35
                                        ; implicit-def: $vgpr4
	s_and_saveexec_b64 s[52:53], s[26:27]
	s_cbranch_execz .LBB13_169
; %bb.168:                              ;   in Loop: Header=BB13_53 Depth=2
	v_sub_u32_e32 v1, v48, v1
	v_and_b32_e32 v2, 0x7ffffc00, v59
	v_cndmask_b32_e32 v1, 0, v1, vcc
	v_cmp_lt_i32_e32 vcc, 0, v39
	v_add_u32_e32 v34, v1, v2
	v_cndmask_b32_e32 v1, 0, v12, vcc
	v_sub_u32_e32 v1, v1, v39
	v_lshl_add_u32 v35, v1, 6, v38
	v_ashrrev_i32_e32 v1, 31, v35
	v_lshrrev_b32_e32 v1, 26, v1
	v_add_u32_e32 v1, v35, v1
	s_mov_b64 s[28:29], exec
	v_ashrrev_i32_e32 v4, 6, v1
.LBB13_169:                             ;   in Loop: Header=BB13_53 Depth=2
	s_or_b64 exec, exec, s[52:53]
	s_and_b64 s[26:27], s[28:29], exec
	v_mov_b32_e32 v59, v0
.LBB13_170:                             ;   in Loop: Header=BB13_53 Depth=2
	s_or_b64 exec, exec, s[50:51]
	s_and_saveexec_b64 s[28:29], s[26:27]
	s_cbranch_execz .LBB13_183
.LBB13_171:                             ;   in Loop: Header=BB13_53 Depth=2
	v_ashrrev_i32_e32 v0, 31, v59
	v_lshrrev_b32_e32 v0, 22, v0
	v_add_u32_e32 v0, v59, v0
	v_ashrrev_i32_e32 v38, 10, v0
	v_sub_u32_e32 v36, v38, v4
	v_ashrrev_i32_e32 v0, 31, v35
	v_cmp_lt_i32_e32 vcc, 0, v36
	v_lshrrev_b32_e32 v37, 26, v0
	s_and_saveexec_b64 s[50:51], vcc
	s_cbranch_execz .LBB13_177
; %bb.172:                              ;   in Loop: Header=BB13_53 Depth=2
	ds_read_b64 v[0:1], v0 offset:584
	ds_read_b64 v[2:3], v57 offset:584
	v_add_u32_e32 v5, v35, v37
	v_and_b32_e32 v5, 0xffffffc0, v5
	v_sub_u32_e32 v5, v35, v5
	v_lshlrev_b32_e32 v4, 10, v4
	v_add3_u32 v4, v5, v4, v34
	v_accvgpr_write_b32 a10, v46
	v_accvgpr_write_b32 a11, v47
	;; [unrolled: 1-line block ×7, first 2 shown]
	v_ashrrev_i32_e32 v5, 31, v4
	v_cmp_lt_i32_e32 vcc, 1, v58
	s_mov_b64 s[52:53], 0
	v_pk_mov_b32 v[6:7], 0, 0
	s_branch .LBB13_174
.LBB13_173:                             ;   in Loop: Header=BB13_174 Depth=3
	s_or_b64 exec, exec, s[54:55]
	v_add_co_u32_e64 v6, s[26:27], v6, v24
	v_addc_co_u32_e64 v7, s[26:27], v7, v11, s[26:27]
	v_add_co_u32_e64 v0, s[26:27], v0, v43
	v_sub_u32_e32 v36, v36, v12
	v_addc_co_u32_e64 v1, s[26:27], v1, v44, s[26:27]
	v_cmp_gt_i32_e64 s[26:27], 1, v36
	s_or_b64 s[52:53], s[26:27], s[52:53]
	v_add_co_u32_e64 v2, s[26:27], v2, v43
	v_addc_co_u32_e64 v3, s[26:27], v3, v44, s[26:27]
	s_andn2_b64 exec, exec, s[52:53]
	s_cbranch_execz .LBB13_176
.LBB13_174:                             ;   Parent Loop BB13_4 Depth=1
                                        ;     Parent Loop BB13_53 Depth=2
                                        ; =>    This Inner Loop Header: Depth=3
	s_waitcnt lgkmcnt(0)
	v_add_co_u32_e64 v46, s[26:27], v4, v0
	v_addc_co_u32_e64 v47, s[26:27], v5, v1, s[26:27]
	flat_load_ubyte v39, v[46:47] glc slc
	flat_load_ubyte v48, v[46:47] offset:64 glc slc
	flat_load_ubyte v49, v[46:47] offset:128 glc slc
	;; [unrolled: 1-line block ×15, first 2 shown]
	s_waitcnt lgkmcnt(0)
	v_add_co_u32_e64 v46, s[26:27], v4, v2
	v_addc_co_u32_e64 v47, s[26:27], v5, v3, s[26:27]
	s_waitcnt vmcnt(0)
	flat_store_byte v[46:47], v39 glc slc
	flat_store_byte v[46:47], v48 offset:64 glc slc
	flat_store_byte v[46:47], v49 offset:128 glc slc
	;; [unrolled: 1-line block ×15, first 2 shown]
	s_and_saveexec_b64 s[54:55], vcc
	s_cbranch_execz .LBB13_173
; %bb.175:                              ;   in Loop: Header=BB13_174 Depth=3
	ds_read_b64 v[46:47], v57 offset:592
	v_add_co_u32_e64 v13, s[26:27], v4, v6
	v_addc_co_u32_e64 v56, s[26:27], v5, v7, s[26:27]
	s_waitcnt lgkmcnt(0)
	v_add_co_u32_e64 v46, s[26:27], v13, v46
	v_addc_co_u32_e64 v47, s[26:27], v56, v47, s[26:27]
	flat_store_byte v[46:47], v39 glc slc
	flat_store_byte v[46:47], v48 offset:64 glc slc
	flat_store_byte v[46:47], v49 offset:128 glc slc
	;; [unrolled: 1-line block ×15, first 2 shown]
	s_branch .LBB13_173
.LBB13_176:                             ;   in Loop: Header=BB13_53 Depth=2
	s_or_b64 exec, exec, s[52:53]
	v_accvgpr_read_b32 v50, a3
	v_mov_b32_e32 v52, 2
	v_mov_b32_e32 v53, -1
	v_accvgpr_read_b32 v40, a4
	v_accvgpr_read_b32 v13, a5
	;; [unrolled: 1-line block ×6, first 2 shown]
.LBB13_177:                             ;   in Loop: Header=BB13_53 Depth=2
	s_or_b64 exec, exec, s[50:51]
	v_lshlrev_b32_e32 v0, 10, v38
	v_cmp_ne_u32_e32 vcc, v59, v0
	s_and_b64 exec, exec, vcc
	s_cbranch_execz .LBB13_183
; %bb.178:                              ;   in Loop: Header=BB13_53 Depth=2
	v_add_u32_e32 v1, v35, v37
	v_and_b32_e32 v1, 0xffffffc0, v1
	v_sub_u32_e32 v1, v35, v1
	v_lshlrev_b32_e32 v2, 6, v36
	v_sub_u32_e32 v1, v1, v2
	v_add_u32_e32 v0, v0, v1
	v_sub_u32_e32 v35, v59, v0
	v_cmp_lt_i32_e32 vcc, 0, v35
	s_and_b64 exec, exec, vcc
	s_cbranch_execz .LBB13_183
; %bb.179:                              ;   in Loop: Header=BB13_53 Depth=2
	v_add_u32_e32 v0, v0, v34
	ds_read_b64 v[2:3], v57 offset:584
	ds_read_b64 v[4:5], v0 offset:584
	v_ashrrev_i32_e32 v1, 31, v0
	v_cmp_lt_i32_e32 vcc, 1, v58
	s_mov_b64 s[50:51], 0
	v_pk_mov_b32 v[6:7], v[0:1], v[0:1] op_sel:[0,1]
	s_branch .LBB13_181
.LBB13_180:                             ;   in Loop: Header=BB13_181 Depth=3
	s_or_b64 exec, exec, s[52:53]
	v_add_co_u32_e64 v6, s[26:27], v6, v14
	v_sub_u32_e32 v35, v35, v14
	v_addc_co_u32_e64 v7, s[26:27], v7, v47, s[26:27]
	v_cmp_gt_i32_e64 s[26:27], 1, v35
	s_or_b64 s[50:51], s[26:27], s[50:51]
	v_add_co_u32_e64 v0, s[26:27], v0, v45
	v_addc_co_u32_e64 v1, s[26:27], v1, v55, s[26:27]
	s_andn2_b64 exec, exec, s[50:51]
	s_cbranch_execz .LBB13_183
.LBB13_181:                             ;   Parent Loop BB13_4 Depth=1
                                        ;     Parent Loop BB13_53 Depth=2
                                        ; =>    This Inner Loop Header: Depth=3
	s_waitcnt lgkmcnt(0)
	v_add_co_u32_e64 v20, s[26:27], v4, v0
	v_addc_co_u32_e64 v21, s[26:27], v5, v1, s[26:27]
	flat_load_ubyte v10, v[20:21] glc slc
	v_add_co_u32_e64 v20, s[26:27], v2, v0
	v_addc_co_u32_e64 v21, s[26:27], v3, v1, s[26:27]
	s_waitcnt vmcnt(0) lgkmcnt(0)
	flat_store_byte v[20:21], v10 glc slc
	s_and_saveexec_b64 s[52:53], vcc
	s_cbranch_execz .LBB13_180
; %bb.182:                              ;   in Loop: Header=BB13_181 Depth=3
	ds_read_b64 v[20:21], v57 offset:592
	s_waitcnt lgkmcnt(0)
	v_add_co_u32_e64 v20, s[26:27], v6, v20
	v_addc_co_u32_e64 v21, s[26:27], v7, v21, s[26:27]
	flat_store_byte v[20:21], v10 glc slc
	s_branch .LBB13_180
.LBB13_183:                             ;   in Loop: Header=BB13_53 Depth=2
	s_or_b64 exec, exec, s[28:29]
	v_cmp_ne_u32_e32 vcc, 0, v31
	v_and_b32_e32 v0, 16, v15
	s_and_b64 s[26:27], vcc, s[48:49]
	v_cmp_ne_u32_e32 vcc, 0, v0
	s_and_b64 s[26:27], s[26:27], vcc
	s_and_saveexec_b64 s[28:29], s[26:27]
	s_cbranch_execz .LBB13_187
; %bb.184:                              ;   in Loop: Header=BB13_53 Depth=2
	flat_load_dwordx2 v[0:1], v[28:29] offset:16
	s_waitcnt vmcnt(0) lgkmcnt(0)
	v_cmp_ne_u64_e32 vcc, 0, v[0:1]
	s_and_saveexec_b64 s[48:49], vcc
	s_cbranch_execz .LBB13_186
; %bb.185:                              ;   in Loop: Header=BB13_53 Depth=2
	ds_read_b32 v2, v0 offset:12
	v_and_b32_e32 v3, 7, v26
	v_mad_u64_u32 v[0:1], vcc, v3, 24, v[0:1]
	s_waitcnt lgkmcnt(0)
	v_add_u32_e32 v2, v2, v46
	v_ashrrev_i32_e32 v3, 31, v2
	flat_store_dwordx2 v[0:1], v[2:3] offset:8
.LBB13_186:                             ;   in Loop: Header=BB13_53 Depth=2
	s_or_b64 exec, exec, s[48:49]
	flat_load_dwordx2 v[0:1], v[28:29] offset:8
	v_add_co_u32_e32 v26, vcc, 1, v26
	v_addc_co_u32_e32 v27, vcc, 0, v27, vcc
	flat_store_dwordx2 v[28:29], v[26:27]
	s_waitcnt vmcnt(0) lgkmcnt(0)
	flat_store_dwordx2 v[0:1], v[26:27] offset:104 glc slc
.LBB13_187:                             ;   in Loop: Header=BB13_53 Depth=2
	s_or_b64 exec, exec, s[28:29]
	v_cmp_ne_u32_e32 vcc, 0, v30
	v_and_b32_e32 v0, 32, v15
	s_and_b64 s[28:29], s[46:47], vcc
	v_cmp_ne_u32_e32 vcc, 0, v0
	s_and_b64 s[28:29], s[28:29], vcc
	s_and_saveexec_b64 s[46:47], s[28:29]
	s_cbranch_execz .LBB13_189
; %bb.188:                              ;   in Loop: Header=BB13_53 Depth=2
	flat_load_dwordx2 v[0:1], v[28:29] offset:8
	v_add_co_u32_e32 v26, vcc, 1, v26
	v_addc_co_u32_e32 v27, vcc, 0, v27, vcc
	flat_store_dwordx2 v[28:29], v[26:27]
	s_waitcnt vmcnt(0) lgkmcnt(0)
	flat_store_dwordx2 v[0:1], v[26:27] offset:104 glc slc
.LBB13_189:                             ;   in Loop: Header=BB13_53 Depth=2
	s_or_b64 exec, exec, s[46:47]
	ds_read_b32 v0, v0
	s_waitcnt lgkmcnt(0)
	v_cmp_lt_i32_e32 vcc, -1, v0
	s_and_saveexec_b64 s[46:47], vcc
	s_xor_b64 s[46:47], exec, s[46:47]
	s_cbranch_execz .LBB13_204
; %bb.190:                              ;   in Loop: Header=BB13_53 Depth=2
	v_and_b32_e32 v0, 4, v15
	v_cmp_ne_u32_e32 vcc, 0, v0
	s_and_saveexec_b64 s[48:49], vcc
	s_cbranch_execz .LBB13_192
; %bb.191:                              ;   in Loop: Header=BB13_53 Depth=2
	flat_load_dword v4, v[28:29] offset:64
	ds_read2_b32 v[0:1], v0 offset0:2 offset1:4
	s_waitcnt lgkmcnt(0)
	v_add_u32_e32 v2, v0, v46
	v_ashrrev_i32_e32 v0, 31, v1
	v_add_co_u32_e32 v5, vcc, v26, v1
	v_ashrrev_i32_e32 v3, 31, v2
	v_addc_co_u32_e32 v6, vcc, v27, v0, vcc
	s_waitcnt vmcnt(0)
	v_ashrrev_i32_e32 v7, 31, v4
	v_mad_u64_u32 v[0:1], vcc, v5, v4, v[2:3]
	v_mul_lo_u32 v2, v5, v7
	v_mul_lo_u32 v3, v6, v4
	v_add3_u32 v1, v3, v1, v2
	flat_atomic_smax_x2 v[28:29], v[0:1] offset:56
.LBB13_192:                             ;   in Loop: Header=BB13_53 Depth=2
	s_or_b64 exec, exec, s[48:49]
                                        ; implicit-def: $vgpr32_vgpr33
	s_andn2_saveexec_b64 s[46:47], s[46:47]
	s_cbranch_execnz .LBB13_205
.LBB13_193:                             ;   in Loop: Header=BB13_53 Depth=2
	s_or_b64 exec, exec, s[46:47]
	s_and_saveexec_b64 s[24:25], s[16:17]
	s_xor_b64 s[24:25], exec, s[24:25]
	s_cbranch_execz .LBB13_211
.LBB13_194:                             ;   in Loop: Header=BB13_53 Depth=2
	s_and_saveexec_b64 s[46:47], s[18:19]
	s_cbranch_execz .LBB13_220
; %bb.195:                              ;   in Loop: Header=BB13_53 Depth=2
	s_mov_b64 s[50:51], exec
	v_mbcnt_lo_u32_b32 v0, s50, 0
	v_mbcnt_hi_u32_b32 v0, s51, v0
	v_cmp_eq_u32_e32 vcc, 0, v0
	s_waitcnt vmcnt(0) lgkmcnt(0)
	buffer_wbinvl1_vol
	s_and_saveexec_b64 s[48:49], vcc
	s_cbranch_execz .LBB13_197
; %bb.196:                              ;   in Loop: Header=BB13_53 Depth=2
	s_bcnt1_i32_b64 vcc_lo, s[50:51]
	v_mov_b32_e32 v0, vcc_lo
	v_mov_b32_e32 v1, v8
	ds_add_u64 v0, v[0:1]
	s_trap 2
.LBB13_197:                             ;   in Loop: Header=BB13_53 Depth=2
	s_or_b64 exec, exec, s[48:49]
	s_trap 2
	ds_read_b64 v[0:1], v0
	v_add_co_u32_e32 v18, vcc, 2, v18
	v_addc_co_u32_e32 v19, vcc, 0, v19, vcc
	s_waitcnt lgkmcnt(0)
	v_cmp_lt_u64_e32 vcc, v[0:1], v[18:19]
	s_and_saveexec_b64 s[48:49], vcc
	s_cbranch_execz .LBB13_219
; %bb.198:                              ;   in Loop: Header=BB13_53 Depth=2
	s_mov_b32 s60, 0
	s_mov_b64 s[50:51], 0
                                        ; implicit-def: $sgpr52_sgpr53
                                        ; implicit-def: $sgpr54_sgpr55
	s_branch .LBB13_200
.LBB13_199:                             ;   in Loop: Header=BB13_200 Depth=3
	s_or_b64 exec, exec, s[58:59]
	s_and_b64 vcc, exec, vcc
	s_or_b64 s[50:51], vcc, s[50:51]
	s_andn2_b64 vcc, s[52:53], exec
	s_and_b64 s[52:53], s[54:55], exec
	s_or_b64 s[52:53], vcc, s[52:53]
	s_andn2_b64 exec, exec, s[50:51]
	s_cbranch_execz .LBB13_217
.LBB13_200:                             ;   Parent Loop BB13_4 Depth=1
                                        ;     Parent Loop BB13_53 Depth=2
                                        ; =>    This Inner Loop Header: Depth=3
	s_add_i32 s60, s60, 1
	s_cmpk_lg_i32 s60, 0x2710
	s_cselect_b64 s[56:57], -1, 0
	s_and_b64 vcc, exec, s[56:57]
                                        ; implicit-def: $sgpr58_sgpr59
	s_cbranch_vccnz .LBB13_202
; %bb.201:                              ;   in Loop: Header=BB13_200 Depth=3
	s_trap 2
	ds_read_b64 v[0:1], v0
	s_andn2_b64 s[56:57], s[56:57], exec
	s_mov_b32 s60, 0
	s_mov_b64 s[58:59], -1
	s_waitcnt lgkmcnt(0)
	flat_load_dword v0, v[0:1] glc
	s_waitcnt vmcnt(0) lgkmcnt(0)
	buffer_invl2
	buffer_wbinvl1_vol
	v_cmp_eq_u32_e32 vcc, 0, v0
	s_and_b64 vcc, vcc, exec
	s_or_b64 s[56:57], s[56:57], vcc
.LBB13_202:                             ;   in Loop: Header=BB13_200 Depth=3
	s_andn2_b64 s[54:55], s[54:55], exec
	s_and_b64 s[58:59], s[58:59], exec
	s_mov_b64 vcc, -1
	s_or_b64 s[54:55], s[54:55], s[58:59]
	s_and_saveexec_b64 s[58:59], s[56:57]
	s_cbranch_execz .LBB13_199
; %bb.203:                              ;   in Loop: Header=BB13_200 Depth=3
	s_sleep 1
	s_trap 2
	ds_read_b64 v[0:1], v0
	s_andn2_b64 s[54:55], s[54:55], exec
	s_waitcnt lgkmcnt(0)
	v_cmp_ge_u64_e32 vcc, v[0:1], v[18:19]
	s_orn2_b64 vcc, vcc, exec
	s_branch .LBB13_199
.LBB13_204:                             ;   in Loop: Header=BB13_53 Depth=2
	s_andn2_saveexec_b64 s[46:47], s[46:47]
	s_cbranch_execz .LBB13_193
.LBB13_205:                             ;   in Loop: Header=BB13_53 Depth=2
	s_and_saveexec_b64 s[48:49], s[24:25]
	s_cbranch_execz .LBB13_210
; %bb.206:                              ;   in Loop: Header=BB13_53 Depth=2
	s_mov_b64 s[50:51], exec
	s_mov_b64 s[24:25], s[30:31]
.LBB13_207:                             ;   Parent Loop BB13_4 Depth=1
                                        ;     Parent Loop BB13_53 Depth=2
                                        ; =>    This Inner Loop Header: Depth=3
	s_ff1_i32_b64 s52, s[50:51]
	v_readlane_b32 s53, v33, s52
	v_readlane_b32 s54, v32, s52
	v_mov_b32_e32 v0, s54
	v_mov_b32_e32 v1, s53
	v_cmp_gt_i64_e32 vcc, s[24:25], v[0:1]
	s_and_b64 vcc, vcc, exec
	s_cselect_b32 s25, s25, s53
	s_cselect_b32 s24, s24, s54
	s_lshl_b64 vcc, 1, s52
	s_andn2_b64 s[50:51], s[50:51], vcc
	s_cmp_lg_u64 s[50:51], 0
	s_cbranch_scc1 .LBB13_207
; %bb.208:                              ;   in Loop: Header=BB13_53 Depth=2
	v_mbcnt_lo_u32_b32 v0, exec_lo, 0
	v_mbcnt_hi_u32_b32 v0, exec_hi, v0
	v_cmp_eq_u32_e32 vcc, 0, v0
	s_and_saveexec_b64 s[50:51], vcc
	s_xor_b64 s[50:51], exec, s[50:51]
	s_cbranch_execz .LBB13_210
; %bb.209:                              ;   in Loop: Header=BB13_53 Depth=2
	v_pk_mov_b32 v[0:1], s[24:25], s[24:25] op_sel:[0,1]
	ds_max_i64 v0, v[0:1]
	s_trap 2
.LBB13_210:                             ;   in Loop: Header=BB13_53 Depth=2
	s_or_b64 exec, exec, s[48:49]
	s_or_b64 exec, exec, s[46:47]
	s_and_saveexec_b64 s[24:25], s[16:17]
	s_xor_b64 s[24:25], exec, s[24:25]
	s_cbranch_execnz .LBB13_194
.LBB13_211:                             ;   in Loop: Header=BB13_53 Depth=2
	s_andn2_saveexec_b64 s[24:25], s[24:25]
	s_cbranch_execz .LBB13_221
.LBB13_212:                             ;   in Loop: Header=BB13_53 Depth=2
	s_waitcnt vmcnt(0) lgkmcnt(0)
	buffer_wbinvl1_vol
	s_barrier
	s_or_b64 exec, exec, s[24:25]
	s_and_saveexec_b64 s[24:25], s[26:27]
	s_cbranch_execnz .LBB13_222
.LBB13_213:                             ;   in Loop: Header=BB13_53 Depth=2
	s_or_b64 exec, exec, s[24:25]
	s_and_saveexec_b64 s[24:25], s[28:29]
	s_cbranch_execz .LBB13_215
.LBB13_214:                             ;   in Loop: Header=BB13_53 Depth=2
	flat_load_dwordx2 v[0:1], v[28:29] offset:32
	s_waitcnt vmcnt(0) lgkmcnt(0)
	flat_store_dwordx2 v[0:1], v[26:27] glc slc
.LBB13_215:                             ;   in Loop: Header=BB13_53 Depth=2
	s_or_b64 exec, exec, s[24:25]
	s_or_b64 exec, exec, s[44:45]
	s_and_saveexec_b64 s[24:25], s[22:23]
	s_cbranch_execz .LBB13_52
.LBB13_216:                             ;   in Loop: Header=BB13_53 Depth=2
	ds_write_b32 v0, v8 offset:36
	s_branch .LBB13_52
.LBB13_217:                             ;   in Loop: Header=BB13_53 Depth=2
	s_or_b64 exec, exec, s[50:51]
	s_and_saveexec_b64 vcc, s[52:53]
	s_xor_b64 vcc, exec, vcc
	s_cbranch_execz .LBB13_219
; %bb.218:                              ;   in Loop: Header=BB13_53 Depth=2
	ds_write_b32 v0, v51
	s_trap 2
.LBB13_219:                             ;   in Loop: Header=BB13_53 Depth=2
	s_or_b64 exec, exec, s[48:49]
	;;#ASMSTART
	s_wakeup
	;;#ASMEND
.LBB13_220:                             ;   in Loop: Header=BB13_53 Depth=2
	s_or_b64 exec, exec, s[46:47]
	s_andn2_saveexec_b64 s[24:25], s[24:25]
	s_cbranch_execnz .LBB13_212
.LBB13_221:                             ;   in Loop: Header=BB13_53 Depth=2
	s_or_b64 exec, exec, s[24:25]
	s_and_saveexec_b64 s[24:25], s[26:27]
	s_cbranch_execz .LBB13_213
.LBB13_222:                             ;   in Loop: Header=BB13_53 Depth=2
	flat_load_dwordx2 v[0:1], v[28:29] offset:40
	s_waitcnt vmcnt(0) lgkmcnt(0)
	flat_store_dwordx2 v[0:1], v[26:27] glc slc
	s_or_b64 exec, exec, s[24:25]
	s_and_saveexec_b64 s[24:25], s[28:29]
	s_cbranch_execnz .LBB13_214
	s_branch .LBB13_215
.LBB13_223:                             ;   in Loop: Header=BB13_4 Depth=1
	s_or_b64 exec, exec, s[42:43]
	v_and_b32_e32 v0, 0x800, v15
	v_cmp_eq_u32_e32 vcc, 0, v0
	s_and_b64 s[20:21], exec, vcc
	v_accvgpr_read_b32 v32, a2
	s_mov_b64 exec, s[20:21]
	s_cbranch_execz .LBB13_253
; %bb.224:                              ;   in Loop: Header=BB13_4 Depth=1
	v_and_b32_e32 v0, 48, v15
	v_cmp_ne_u32_e32 vcc, 0, v0
	s_and_saveexec_b64 s[20:21], vcc
	s_cbranch_execz .LBB13_226
; %bb.225:                              ;   in Loop: Header=BB13_4 Depth=1
	v_mov_b32_e32 v0, 0x68
	v_mov_b32_e32 v1, 0
	flat_store_dwordx2 v[0:1], v[26:27]
.LBB13_226:                             ;   in Loop: Header=BB13_4 Depth=1
	s_or_b64 exec, exec, s[20:21]
	v_and_b32_e32 v0, 0x88, v15
	v_cmp_eq_u32_e32 vcc, s67, v0
	s_and_saveexec_b64 s[20:21], vcc
	s_cbranch_execz .LBB13_237
; %bb.227:                              ;   in Loop: Header=BB13_4 Depth=1
	v_add_u32_e32 v0, -1, v26
	v_and_b32_e32 v0, 7, v0
	v_mad_u64_u32 v[0:1], s[22:23], v0, 24, 8
	s_mov_b64 s[22:23], 0
	v_mov_b32_e32 v2, 0
                                        ; implicit-def: $sgpr24_sgpr25
	s_branch .LBB13_232
.LBB13_228:                             ;   in Loop: Header=BB13_232 Depth=2
	s_or_b64 exec, exec, s[46:47]
	v_mov_b32_e32 v3, 0
	s_orn2_b64 s[44:45], s[44:45], exec
.LBB13_229:                             ;   in Loop: Header=BB13_232 Depth=2
	s_or_b64 exec, exec, s[42:43]
	s_and_b64 s[42:43], s[44:45], exec
	v_mov_b32_e32 v2, v3
.LBB13_230:                             ;   in Loop: Header=BB13_232 Depth=2
	s_or_b64 exec, exec, s[28:29]
	s_xor_b64 s[28:29], s[42:43], -1
	s_andn2_b64 s[24:25], s[24:25], exec
	s_and_b64 s[28:29], s[28:29], exec
	s_or_b64 s[24:25], s[24:25], s[28:29]
.LBB13_231:                             ;   in Loop: Header=BB13_232 Depth=2
	s_or_b64 exec, exec, s[26:27]
	s_and_b64 s[26:27], exec, s[24:25]
	s_or_b64 s[22:23], s[26:27], s[22:23]
	s_andn2_b64 exec, exec, s[22:23]
	s_cbranch_execz .LBB13_237
.LBB13_232:                             ;   Parent Loop BB13_4 Depth=1
                                        ; =>  This Inner Loop Header: Depth=2
	flat_load_dwordx2 v[4:5], v[0:1] glc
	s_waitcnt vmcnt(0)
	s_or_b64 s[24:25], s[24:25], exec
	s_waitcnt lgkmcnt(0)
	v_cmp_ne_u64_e32 vcc, -1, v[4:5]
	s_and_saveexec_b64 s[26:27], vcc
	s_cbranch_execz .LBB13_231
; %bb.233:                              ;   in Loop: Header=BB13_232 Depth=2
	v_and_b32_e32 v3, 64, v15
	v_cmp_eq_u32_e32 vcc, 0, v3
	s_mov_b64 s[42:43], 0
	s_and_saveexec_b64 s[28:29], vcc
	s_cbranch_execz .LBB13_230
; %bb.234:                              ;   in Loop: Header=BB13_232 Depth=2
	v_add_u32_e32 v3, 1, v2
	v_cmp_lt_i32_e32 vcc, s34, v2
	s_mov_b64 s[44:45], -1
	s_and_saveexec_b64 s[42:43], vcc
	s_cbranch_execz .LBB13_229
; %bb.235:                              ;   in Loop: Header=BB13_232 Depth=2
	s_trap 2
	ds_read_b64 v[2:3], v0
	s_waitcnt lgkmcnt(0)
	flat_load_dword v2, v[2:3] glc
	s_waitcnt vmcnt(0) lgkmcnt(0)
	buffer_invl2
	buffer_wbinvl1_vol
	v_cmp_ne_u32_e32 vcc, 0, v2
	s_and_saveexec_b64 s[46:47], vcc
	s_cbranch_execz .LBB13_228
; %bb.236:                              ;   in Loop: Header=BB13_232 Depth=2
	v_or_b32_e32 v15, 64, v15
	s_xor_b64 s[44:45], exec, -1
	ds_write_b32 v0, v2
	s_trap 2
	s_branch .LBB13_228
.LBB13_237:                             ;   in Loop: Header=BB13_4 Depth=1
	s_or_b64 exec, exec, s[20:21]
	v_cmp_ne_u32_e32 vcc, 1, v12
	s_and_b64 exec, exec, vcc
	s_cbranch_execz .LBB13_253
; %bb.238:                              ;   in Loop: Header=BB13_4 Depth=1
	s_and_saveexec_b64 s[20:21], s[16:17]
	s_xor_b64 s[16:17], exec, s[20:21]
	s_cbranch_execz .LBB13_251
; %bb.239:                              ;   in Loop: Header=BB13_4 Depth=1
	s_and_saveexec_b64 s[20:21], s[18:19]
	s_cbranch_execz .LBB13_250
; %bb.240:                              ;   in Loop: Header=BB13_4 Depth=1
	v_mov_b32_e32 v0, 1
	v_mov_b32_e32 v1, 0
	s_waitcnt vmcnt(0) lgkmcnt(0)
	buffer_wbinvl1_vol
	ds_add_u64 v0, v[0:1] offset:272
	ds_read_b64 v[0:1], v0 offset:272
	v_ashrrev_i32_e32 v13, 31, v12
	s_waitcnt lgkmcnt(0)
	v_cmp_lt_u64_e32 vcc, v[0:1], v[12:13]
	s_and_saveexec_b64 s[18:19], vcc
	s_cbranch_execz .LBB13_249
; %bb.241:                              ;   in Loop: Header=BB13_4 Depth=1
	s_mov_b32 s44, 0
	s_mov_b64 s[22:23], 0
                                        ; implicit-def: $sgpr24_sgpr25
                                        ; implicit-def: $sgpr26_sgpr27
	s_branch .LBB13_243
.LBB13_242:                             ;   in Loop: Header=BB13_243 Depth=2
	s_or_b64 exec, exec, s[42:43]
	s_and_b64 s[28:29], exec, vcc
	s_or_b64 s[22:23], s[28:29], s[22:23]
	s_andn2_b64 s[24:25], s[24:25], exec
	s_and_b64 s[28:29], s[26:27], exec
	s_or_b64 s[24:25], s[24:25], s[28:29]
	s_andn2_b64 exec, exec, s[22:23]
	s_cbranch_execz .LBB13_247
.LBB13_243:                             ;   Parent Loop BB13_4 Depth=1
                                        ; =>  This Inner Loop Header: Depth=2
	s_add_i32 s44, s44, 1
	s_cmpk_lg_i32 s44, 0x2710
	s_cselect_b64 s[28:29], -1, 0
	s_and_b64 vcc, exec, s[28:29]
                                        ; implicit-def: $sgpr42_sgpr43
	s_cbranch_vccnz .LBB13_245
; %bb.244:                              ;   in Loop: Header=BB13_243 Depth=2
	s_trap 2
	ds_read_b64 v[0:1], v0
	s_andn2_b64 s[28:29], s[28:29], exec
	s_mov_b32 s44, 0
	s_mov_b64 s[42:43], -1
	s_waitcnt lgkmcnt(0)
	flat_load_dword v0, v[0:1] glc
	s_waitcnt vmcnt(0) lgkmcnt(0)
	buffer_invl2
	buffer_wbinvl1_vol
	v_cmp_eq_u32_e32 vcc, 0, v0
	s_and_b64 vcc, vcc, exec
	s_or_b64 s[28:29], s[28:29], vcc
.LBB13_245:                             ;   in Loop: Header=BB13_243 Depth=2
	s_andn2_b64 s[26:27], s[26:27], exec
	s_and_b64 s[42:43], s[42:43], exec
	s_mov_b64 vcc, -1
	s_or_b64 s[26:27], s[26:27], s[42:43]
	s_and_saveexec_b64 s[42:43], s[28:29]
	s_cbranch_execz .LBB13_242
; %bb.246:                              ;   in Loop: Header=BB13_243 Depth=2
	s_sleep 1
	ds_read_b64 v[0:1], v0 offset:272
	s_andn2_b64 s[26:27], s[26:27], exec
	s_waitcnt lgkmcnt(0)
	v_cmp_ge_u64_e32 vcc, v[0:1], v[12:13]
	s_orn2_b64 vcc, vcc, exec
	s_branch .LBB13_242
.LBB13_247:                             ;   in Loop: Header=BB13_4 Depth=1
	s_or_b64 exec, exec, s[22:23]
	s_and_saveexec_b64 s[22:23], s[24:25]
	s_xor_b64 s[22:23], exec, s[22:23]
	s_cbranch_execz .LBB13_249
; %bb.248:                              ;   in Loop: Header=BB13_4 Depth=1
	ds_write_b32 v0, v51
	s_trap 2
.LBB13_249:                             ;   in Loop: Header=BB13_4 Depth=1
	s_or_b64 exec, exec, s[18:19]
	;;#ASMSTART
	s_wakeup
	;;#ASMEND
.LBB13_250:                             ;   in Loop: Header=BB13_4 Depth=1
	s_or_b64 exec, exec, s[20:21]
.LBB13_251:                             ;   in Loop: Header=BB13_4 Depth=1
	s_andn2_saveexec_b64 s[16:17], s[16:17]
	s_cbranch_execz .LBB13_253
; %bb.252:                              ;   in Loop: Header=BB13_4 Depth=1
	s_waitcnt vmcnt(0) lgkmcnt(0)
	buffer_wbinvl1_vol
	s_barrier
.LBB13_253:                             ;   in Loop: Header=BB13_4 Depth=1
	s_or_b64 exec, exec, s[40:41]
                                        ; implicit-def: $vgpr2_vgpr3
                                        ; implicit-def: $vgpr6
                                        ; implicit-def: $vgpr4_vgpr5
                                        ; implicit-def: $vgpr14_vgpr15
                                        ; implicit-def: $vgpr12_vgpr13
.LBB13_254:                             ;   in Loop: Header=BB13_4 Depth=1
	s_andn2_saveexec_b64 s[16:17], s[38:39]
	s_cbranch_execz .LBB13_3
; %bb.255:                              ;   in Loop: Header=BB13_4 Depth=1
	v_add_co_u32_e32 v1, vcc, v6, v4
	v_addc_co_u32_e32 v4, vcc, v7, v5, vcc
	v_add_co_u32_e32 v5, vcc, v12, v2
	v_and_b32_e32 v0, 0x3ffffe00, v14
	v_addc_co_u32_e32 v6, vcc, v13, v3, vcc
	buffer_store_dword v13, off, s[0:3], s32 offset:4
	buffer_store_dword v12, off, s[0:3], s32
	buffer_store_dword v6, off, s[0:3], s32 offset:12
	buffer_store_dword v5, off, s[0:3], s32 offset:8
	;; [unrolled: 1-line block ×5, first 2 shown]
	v_mov_b32_e32 v1, s70
	buffer_store_dword v1, off, s[0:3], s32 offset:36
	v_mov_b32_e32 v1, s71
	buffer_store_dword v1, off, s[0:3], s32 offset:32
	v_sub_u32_e64 v1, s70, 1 clamp
	v_readfirstlane_b32 s16, v1
	s_flbit_i32_b32 s16, s16
	s_sub_i32 s16, 32, s16
	s_lshl_b32 s16, 1, s16
	s_cmp_gt_u32 s70, 1
	s_cselect_b32 s22, s16, 1
	s_lshr_b32 s16, s70, 31
	v_mov_b32_e32 v1, s22
	s_add_i32 s70, s70, s16
	buffer_store_dword v1, off, s[0:3], s32 offset:40
	buffer_store_dword v1, off, s[0:3], s32 offset:68
	;; [unrolled: 1-line block ×4, first 2 shown]
	v_mov_b32_e32 v1, v8
	s_ashr_i32 s21, s70, 1
	s_mov_b32 s23, 1
	s_branch .LBB13_257
.LBB13_256:                             ;   in Loop: Header=BB13_257 Depth=2
	s_andn2_b64 vcc, exec, s[18:19]
	s_cbranch_vccz .LBB13_261
.LBB13_257:                             ;   Parent Loop BB13_4 Depth=1
                                        ; =>  This Inner Loop Header: Depth=2
	s_mov_b32 s24, s23
	s_ashr_i32 s16, s23, 31
	v_mul_hi_u32 v4, v2, s24
	v_mul_lo_u32 v5, v2, s16
	v_add_u32_e32 v4, v4, v5
	v_mul_lo_u32 v5, v3, s24
	v_add_u32_e32 v5, v4, v5
	v_mul_lo_u32 v4, v2, s24
	v_cmp_lt_u64_e32 vcc, v[0:1], v[4:5]
	s_mov_b32 s20, s22
	v_pk_mov_b32 v[6:7], 0, 0
	s_cbranch_vccnz .LBB13_259
; %bb.258:                              ;   in Loop: Header=BB13_257 Depth=2
	v_cvt_f32_u32_e32 v5, v4
	v_sub_u32_e32 v6, 0, v4
	v_rcp_iflag_f32_e32 v5, v5
	v_mul_f32_e32 v5, 0x4f7ffffe, v5
	v_cvt_u32_f32_e32 v5, v5
	v_mul_lo_u32 v6, v6, v5
	v_mul_hi_u32 v6, v5, v6
	v_add_u32_e32 v5, v5, v6
	v_mul_hi_u32 v5, v0, v5
	v_mul_lo_u32 v7, v5, v4
	v_sub_u32_e32 v7, v0, v7
	v_add_u32_e32 v6, 1, v5
	v_sub_u32_e32 v9, v7, v4
	v_cmp_ge_u32_e32 vcc, v7, v4
	v_cndmask_b32_e32 v7, v7, v9, vcc
	v_cndmask_b32_e32 v5, v5, v6, vcc
	v_add_u32_e32 v6, 1, v5
	v_cmp_ge_u32_e32 vcc, v7, v4
	v_cndmask_b32_e32 v6, v5, v6, vcc
	v_mov_b32_e32 v7, v8
.LBB13_259:                             ;   in Loop: Header=BB13_257 Depth=2
	s_cmp_lt_i32 s24, s21
	s_cselect_b64 s[16:17], -1, 0
	s_cmp_ge_i32 s24, s21
	v_cmp_gt_u64_e32 vcc, 2, v[6:7]
	s_cselect_b64 s[22:23], -1, 0
	s_or_b64 s[22:23], s[22:23], vcc
	s_mov_b64 s[18:19], -1
	s_and_b64 vcc, exec, s[22:23]
                                        ; implicit-def: $sgpr23
                                        ; implicit-def: $sgpr22
	s_cbranch_vccnz .LBB13_256
; %bb.260:                              ;   in Loop: Header=BB13_257 Depth=2
	s_lshr_b32 s18, s20, 31
	s_lshl_b32 s23, s24, 1
	s_add_i32 s18, s20, s18
	v_mov_b32_e32 v4, s23
	s_ashr_i32 s22, s18, 1
	buffer_store_dword v4, off, s[0:3], s32 offset:56
	v_mov_b32_e32 v4, s22
	s_mov_b64 s[18:19], 0
	buffer_store_dword v4, off, s[0:3], s32 offset:68
	s_branch .LBB13_256
.LBB13_261:                             ;   in Loop: Header=BB13_4 Depth=1
	v_mov_b32_e32 v4, s24
	s_cmp_gt_i32 s24, 1
	s_mov_b32 s25, 2
	buffer_store_dword v4, off, s[0:3], s32 offset:44
	s_cbranch_scc1 .LBB13_263
; %bb.262:                              ;   in Loop: Header=BB13_4 Depth=1
	v_mov_b32_e32 v4, s24
	s_mov_b32 s25, s24
	buffer_store_dword v4, off, s[0:3], s32 offset:52
.LBB13_263:                             ;   in Loop: Header=BB13_4 Depth=1
	s_andn2_b64 vcc, exec, s[16:17]
	s_cbranch_vccnz .LBB13_268
; %bb.264:                              ;   in Loop: Header=BB13_4 Depth=1
	s_lshr_b32 s17, s20, 31
	s_lshl_b32 s16, s24, 1
	s_add_i32 s17, s20, s17
	v_mov_b32_e32 v4, s16
	s_ashr_i32 s17, s17, 1
	buffer_store_dword v4, off, s[0:3], s32 offset:56
	v_mov_b32_e32 v4, s17
	s_cmp_ge_i32 s16, s21
	buffer_store_dword v4, off, s[0:3], s32 offset:68
	s_cbranch_scc1 .LBB13_267
; %bb.265:                              ;   in Loop: Header=BB13_4 Depth=1
	s_ashr_i32 s18, s20, 31
	s_lshr_b32 s17, s18, 30
	s_lshl_b32 s16, s24, 2
	s_add_i32 s17, s20, s17
	v_mov_b32_e32 v4, s16
	s_ashr_i32 s17, s17, 2
	buffer_store_dword v4, off, s[0:3], s32 offset:56
	v_mov_b32_e32 v4, s17
	s_cmp_ge_i32 s16, s21
	buffer_store_dword v4, off, s[0:3], s32 offset:68
	s_cbranch_scc1 .LBB13_267
; %bb.266:                              ;   in Loop: Header=BB13_4 Depth=1
	s_lshr_b32 s17, s18, 29
	s_lshl_b32 s16, s24, 3
	s_add_i32 s17, s20, s17
	v_mov_b32_e32 v4, s16
	s_ashr_i32 s17, s17, 3
	buffer_store_dword v4, off, s[0:3], s32 offset:56
	v_mov_b32_e32 v4, s17
	buffer_store_dword v4, off, s[0:3], s32 offset:68
.LBB13_267:                             ;   in Loop: Header=BB13_4 Depth=1
	s_mov_b32 s24, s16
	s_mov_b32 s20, s17
.LBB13_268:                             ;   in Loop: Header=BB13_4 Depth=1
	v_sub_u32_e64 v4, s20, 1 clamp
	v_readfirstlane_b32 s16, v4
	s_flbit_i32_b32 s16, s16
	s_sub_i32 s18, 32, s16
	s_cmp_lt_u32 s20, 2
	s_cselect_b64 s[16:17], -1, 0
	s_and_b64 vcc, s[16:17], exec
	v_cmp_lt_i64_e64 s[16:17], v[0:1], v[2:3]
	s_cselect_b32 s27, 0, s18
	v_cndmask_b32_e64 v0, v2, v0, s[16:17]
	s_lshr_b32 s16, s24, 31
	s_add_i32 s16, s24, s16
	s_ashr_i32 s26, s16, 1
	s_add_i32 s16, s24, -2
	s_cmp_lt_u32 s16, -3
	s_cselect_b64 s[16:17], -1, 0
	s_and_b64 s[18:19], s[16:17], exec
	buffer_store_dword v0, off, s[0:3], s32 offset:28
	v_mov_b32_e32 v0, s26
	s_cselect_b32 s18, 2, 1
	v_mov_b32_e32 v4, s27
	buffer_store_dword v0, off, s[0:3], s32 offset:72
	v_mov_b32_e32 v0, s18
	buffer_store_dword v4, off, s[0:3], s32 offset:80
	buffer_store_dword v0, off, s[0:3], s32 offset:76
	;; [unrolled: 1-line block ×3, first 2 shown]
	v_mov_b32_e32 v0, 0
	s_cbranch_vccnz .LBB13_284
; %bb.269:                              ;   in Loop: Header=BB13_4 Depth=1
	s_cmp_gt_u32 s27, 1
	s_cbranch_scc0 .LBB13_273
; %bb.270:                              ;   in Loop: Header=BB13_4 Depth=1
	s_and_b32 s20, s27, 62
	s_mov_b32 s18, s27
	s_mov_b32 s19, 1
	;; [unrolled: 1-line block ×4, first 2 shown]
	v_mov_b32_e32 v0, v50
.LBB13_271:                             ;   Parent Loop BB13_4 Depth=1
                                        ; =>  This Inner Loop Header: Depth=2
	s_sub_i32 s28, s18, s19
	s_sub_i32 s23, s27, s21
	s_add_i32 s21, s21, 2
	s_add_i32 s19, s19, 2
	s_add_i32 s22, s22, -2
	v_mov_b32_e32 v1, s28
	buffer_store_dword v51, v0, s[0:3], 0 offen offset:132
	buffer_store_dword v51, v0, s[0:3], 0 offen offset:128
	v_mov_b32_e32 v2, s23
	s_cmp_lg_u32 s22, 0
	buffer_store_dword v1, v0, s[0:3], 0 offen offset:4
	buffer_store_dword v2, v0, s[0:3], 0 offen
	v_add_u32_e32 v0, 8, v0
	s_cbranch_scc1 .LBB13_271
; %bb.272:                              ;   in Loop: Header=BB13_4 Depth=1
	s_cmp_lg_u32 s27, s20
	s_cselect_b64 s[18:19], -1, 0
	s_and_b64 vcc, exec, s[18:19]
	s_cbranch_vccnz .LBB13_274
	s_branch .LBB13_276
.LBB13_273:                             ;   in Loop: Header=BB13_4 Depth=1
	s_mov_b32 s20, 0
	s_cbranch_execz .LBB13_276
.LBB13_274:                             ;   in Loop: Header=BB13_4 Depth=1
	s_lshl_b32 s18, s20, 2
	v_add_u32_e32 v0, s18, v50
	s_sub_i32 s18, s27, s20
.LBB13_275:                             ;   Parent Loop BB13_4 Depth=1
                                        ; =>  This Inner Loop Header: Depth=2
	v_mov_b32_e32 v1, s18
	s_add_i32 s18, s18, -1
	buffer_store_dword v51, v0, s[0:3], 0 offen offset:128
	buffer_store_dword v1, v0, s[0:3], 0 offen
	s_cmp_eq_u32 s18, 0
	v_add_u32_e32 v0, 4, v0
	s_cbranch_scc0 .LBB13_275
.LBB13_276:                             ;   in Loop: Header=BB13_4 Depth=1
	s_mov_b32 s28, 0
	v_mov_b32_e32 v0, 0
	v_mov_b32_e32 v1, v50
	s_branch .LBB13_280
.LBB13_277:                             ;   in Loop: Header=BB13_280 Depth=2
	s_or_b64 exec, exec, s[22:23]
	v_add_u32_e32 v0, 1, v3
	buffer_store_dword v0, v1, s[0:3], 0 offen offset:128
.LBB13_278:                             ;   in Loop: Header=BB13_280 Depth=2
	s_or_b64 exec, exec, s[20:21]
	v_mov_b32_e32 v0, v2
.LBB13_279:                             ;   in Loop: Header=BB13_280 Depth=2
	s_or_b64 exec, exec, s[18:19]
	s_add_i32 s28, s28, 1
	s_cmp_lg_u32 s27, s28
	v_add_u32_e32 v1, 4, v1
	s_cbranch_scc0 .LBB13_284
.LBB13_280:                             ;   Parent Loop BB13_4 Depth=1
                                        ; =>  This Inner Loop Header: Depth=2
	buffer_load_dword v2, v1, s[0:3], 0 offen
	s_waitcnt vmcnt(0)
	v_add_u32_e32 v2, -1, v2
	v_cmp_eq_u32_e32 vcc, 0, v2
	buffer_store_dword v2, v1, s[0:3], 0 offen
	s_and_saveexec_b64 s[18:19], vcc
	s_cbranch_execz .LBB13_279
; %bb.281:                              ;   in Loop: Header=BB13_280 Depth=2
	s_lshl_b32 s29, 1, s28
	v_xor_b32_e32 v2, s29, v0
	v_mov_b32_e32 v3, s29
	buffer_store_dword v2, off, s[0:3], s32 offset:84
	buffer_store_dword v3, v1, s[0:3], 0 offen
	v_and_b32_e32 v3, s29, v0
	v_cmp_ne_u32_e32 vcc, 0, v3
	s_and_saveexec_b64 s[20:21], vcc
	s_cbranch_execz .LBB13_278
; %bb.282:                              ;   in Loop: Header=BB13_280 Depth=2
	buffer_load_dword v3, v1, s[0:3], 0 offen offset:128
	v_mov_b32_e32 v4, s27
	s_waitcnt vmcnt(0)
	v_ffbl_b32_e32 v5, v3
	v_cmp_eq_u32_e32 vcc, 0, v3
	v_cndmask_b32_e32 v4, v5, v4, vcc
	v_add3_u32 v4, s29, -1, v4
	v_cmp_eq_u32_e32 vcc, 0, v4
	buffer_store_dword v4, v1, s[0:3], 0 offen
	s_and_saveexec_b64 s[22:23], vcc
	s_cbranch_execz .LBB13_277
; %bb.283:                              ;   in Loop: Header=BB13_280 Depth=2
	v_mov_b32_e32 v2, s29
	buffer_store_dword v0, off, s[0:3], s32 offset:84
	buffer_store_dword v2, v1, s[0:3], 0 offen
	v_mov_b32_e32 v2, v0
	s_branch .LBB13_277
.LBB13_284:                             ;   in Loop: Header=BB13_4 Depth=1
	s_andn2_b64 vcc, exec, s[16:17]
	buffer_store_dword v0, off, s[0:3], s32 offset:60
	buffer_store_dword v8, off, s[0:3], s32 offset:64
	s_cbranch_vccnz .LBB13_286
; %bb.285:                              ;   in Loop: Header=BB13_4 Depth=1
	s_lshl_b32 s16, s26, 1
	s_ashr_i32 s17, s26, 31
	s_add_i32 s16, s16, s17
	s_xor_b32 s16, s16, s17
	v_cvt_f32_u32_e32 v0, s16
	s_ashr_i32 s18, s24, 31
	s_xor_b32 s17, s18, s17
	s_sub_i32 s18, 0, s16
	v_rcp_iflag_f32_e32 v0, v0
	s_abs_i32 s19, s24
	v_mul_f32_e32 v0, 0x4f7ffffe, v0
	v_cvt_u32_f32_e32 v0, v0
	v_readfirstlane_b32 s20, v0
	s_mul_i32 s18, s18, s20
	s_mul_hi_u32 s18, s20, s18
	s_add_i32 s20, s20, s18
	s_mul_hi_u32 s18, s19, s20
	s_mul_i32 s20, s18, s16
	s_sub_i32 s19, s19, s20
	s_add_i32 s21, s18, 1
	s_sub_i32 s20, s19, s16
	s_cmp_ge_u32 s19, s16
	s_cselect_b32 s18, s21, s18
	s_cselect_b32 s19, s20, s19
	s_add_i32 s20, s18, 1
	s_cmp_ge_u32 s19, s16
	s_cselect_b32 s16, s20, s18
	s_xor_b32 s16, s16, s17
	s_sub_i32 s24, s16, s17
.LBB13_286:                             ;   in Loop: Header=BB13_4 Depth=1
	v_mov_b32_e32 v0, s24
	buffer_store_dword v0, off, s[0:3], s32 offset:48
	v_mov_b32_e32 v0, s25
	s_mov_b32 s50, 0
	s_mov_b64 s[26:27], 0
	ds_write_b32 v0, v0
	s_trap 2
	s_branch .LBB13_289
.LBB13_287:                             ;   in Loop: Header=BB13_289 Depth=2
	s_or_b64 exec, exec, s[16:17]
	s_andn2_b64 s[22:23], s[22:23], exec
.LBB13_288:                             ;   in Loop: Header=BB13_289 Depth=2
	s_or_b64 exec, exec, s[20:21]
	s_add_i32 s50, s50, 1
	s_and_b64 s[16:17], exec, s[22:23]
	v_cndmask_b32_e64 v0, 1, 3, s[18:19]
	s_or_b64 s[26:27], s[16:17], s[26:27]
	ds_write_b32 v0, v0 offset:36
	s_andn2_b64 exec, exec, s[26:27]
	s_cbranch_execz .LBB13_2
.LBB13_289:                             ;   Parent Loop BB13_4 Depth=1
                                        ; =>  This Loop Header: Depth=2
                                        ;       Child Loop BB13_290 Depth 3
                                        ;       Child Loop BB13_352 Depth 3
	;; [unrolled: 1-line block ×5, first 2 shown]
	s_trap 2
.LBB13_290:                             ;   Parent Loop BB13_4 Depth=1
                                        ;     Parent Loop BB13_289 Depth=2
                                        ; =>    This Inner Loop Header: Depth=3
	ds_read_b32 v0, v0 offset:36
	s_waitcnt lgkmcnt(0)
	v_cmp_ne_u32_e32 vcc, 0, v0
	s_cbranch_vccnz .LBB13_290
; %bb.291:                              ;   in Loop: Header=BB13_289 Depth=2
	buffer_load_dword v0, off, s[0:3], s32
	buffer_load_dword v1, off, s[0:3], s32 offset:4
	buffer_load_dword v5, off, s[0:3], s32 offset:28
	;; [unrolled: 1-line block ×5, first 2 shown]
	s_mov_b64 s[18:19], -1
	s_waitcnt vmcnt(0)
	ds_write2_b32 v0, v5, v8 offset0:7 offset1:8
	ds_write_b64 v0, v[0:1] offset:40
	v_cmp_lt_i32_e32 vcc, v7, v11
	s_and_saveexec_b64 s[28:29], vcc
	s_cbranch_execz .LBB13_327
; %bb.292:                              ;   in Loop: Header=BB13_289 Depth=2
	v_cmp_lt_i32_e32 vcc, 0, v6
                                        ; implicit-def: $sgpr16_sgpr17
	s_and_saveexec_b64 s[18:19], vcc
	s_xor_b64 s[38:39], exec, s[18:19]
	s_cbranch_execz .LBB13_320
; %bb.293:                              ;   in Loop: Header=BB13_289 Depth=2
	v_cmp_lt_i32_e32 vcc, 1, v6
                                        ; implicit-def: $sgpr40_sgpr41
	s_and_saveexec_b64 s[16:17], vcc
	s_xor_b64 s[20:21], exec, s[16:17]
	s_cbranch_execz .LBB13_305
; %bb.294:                              ;   in Loop: Header=BB13_289 Depth=2
	v_cmp_eq_u32_e32 vcc, 2, v6
	s_mov_b64 s[16:17], 0
	s_and_saveexec_b64 s[22:23], vcc
	s_cbranch_execz .LBB13_304
; %bb.295:                              ;   in Loop: Header=BB13_289 Depth=2
	buffer_load_dword v4, off, s[0:3], s32 offset:44
	buffer_load_dword v2, off, s[0:3], s32 offset:68
	;; [unrolled: 1-line block ×3, first 2 shown]
	v_sub_u32_e32 v13, 0, v7
	v_ashrrev_i32_e32 v15, 31, v7
	v_max_i32_e32 v17, v7, v13
	v_lshlrev_b32_e32 v12, 1, v7
	v_or_b32_e32 v16, 1, v12
                                        ; implicit-def: $sgpr16_sgpr17
	s_waitcnt vmcnt(2)
	v_sub_u32_e32 v9, 0, v4
	v_max_i32_e32 v9, v4, v9
	v_cvt_f32_u32_e32 v10, v9
	s_waitcnt vmcnt(0)
	v_mul_lo_u32 v14, v2, v3
	v_ashrrev_i32_e32 v13, 31, v4
	v_rcp_iflag_f32_e32 v10, v10
	v_mul_f32_e32 v2, 0x4f7ffffe, v10
	v_cvt_u32_f32_e32 v3, v2
	v_xor_b32_e32 v10, v15, v13
	v_sub_u32_e32 v15, 0, v9
	v_mul_lo_u32 v2, v14, v16
	v_mul_lo_u32 v15, v15, v3
	v_mul_hi_u32 v15, v3, v15
	v_add_u32_e32 v15, v3, v15
	v_mul_hi_u32 v3, v17, v15
	v_mul_lo_u32 v16, v3, v9
	v_sub_u32_e32 v16, v17, v16
	v_add_u32_e32 v18, 1, v3
	v_cmp_ge_u32_e32 vcc, v16, v9
	v_sub_u32_e32 v17, v16, v9
	v_cndmask_b32_e32 v3, v3, v18, vcc
	v_cndmask_b32_e32 v16, v16, v17, vcc
	v_add_u32_e32 v17, 1, v3
	v_cmp_ge_u32_e32 vcc, v16, v9
	v_cndmask_b32_e32 v3, v3, v17, vcc
	v_xor_b32_e32 v3, v3, v10
	v_sub_u32_e32 v3, v3, v10
	v_mul_lo_u32 v10, v3, v4
	v_sub_u32_e32 v17, v7, v10
	v_add_u32_e32 v10, -1, v4
	v_cmp_ne_u32_e32 vcc, v17, v10
                                        ; implicit-def: $vgpr16
	s_and_saveexec_b64 s[18:19], vcc
	s_xor_b64 s[18:19], exec, s[18:19]
	s_cbranch_execz .LBB13_297
; %bb.296:                              ;   in Loop: Header=BB13_289 Depth=2
	buffer_load_dword v16, off, s[0:3], s32 offset:36
	v_lshl_add_u32 v10, v14, 1, v2
	s_waitcnt vmcnt(0)
	v_cmp_ge_i32_e32 vcc, v10, v16
	s_and_b64 s[16:17], vcc, exec
.LBB13_297:                             ;   in Loop: Header=BB13_289 Depth=2
	s_andn2_saveexec_b64 s[18:19], s[18:19]
	s_cbranch_execz .LBB13_299
; %bb.298:                              ;   in Loop: Header=BB13_289 Depth=2
	buffer_load_dword v16, off, s[0:3], s32 offset:36
	s_or_b64 s[16:17], s[16:17], exec
.LBB13_299:                             ;   in Loop: Header=BB13_289 Depth=2
	s_or_b64 exec, exec, s[18:19]
	buffer_load_dword v10, off, s[0:3], s32 offset:40
	buffer_load_dword v18, off, s[0:3], s32 offset:32
	;; [unrolled: 1-line block ×4, first 2 shown]
	s_waitcnt vmcnt(4)
	v_sub_u32_e32 v21, 0, v16
	v_max_i32_e32 v21, v16, v21
	v_cvt_f32_u32_e32 v22, v21
	v_cndmask_b32_e64 v23, 0, 1, s[16:17]
	v_mul_lo_u32 v17, v17, v5
	ds_write2_b32 v0, v8, v23 offset0:5 offset1:6
	ds_write2_b32 v0, v17, v3 offset0:3 offset1:4
	v_rcp_iflag_f32_e32 v22, v22
	v_sub_u32_e32 v3, 0, v21
	v_ffbl_b32_e32 v24, v2
	v_cmp_eq_u32_e64 s[16:17], 0, v14
	v_mul_f32_e32 v22, 0x4f7ffffe, v22
	v_cvt_u32_f32_e32 v22, v22
	v_cmp_ge_i32_e32 vcc, v2, v16
                                        ; implicit-def: $sgpr24_sgpr25
	v_mul_lo_u32 v3, v3, v22
	v_mul_hi_u32 v3, v22, v3
	v_add_u32_e32 v17, v22, v3
	s_waitcnt vmcnt(3)
	v_cndmask_b32_e64 v3, v24, v10, s[16:17]
	v_lshl_add_u32 v2, -1, v3, v2
	s_waitcnt vmcnt(2)
	v_add3_u32 v10, v2, v16, v18
	v_sub_u32_e32 v18, 0, v10
	v_ashrrev_i32_e32 v16, 31, v10
	v_max_i32_e32 v10, v10, v18
	v_mul_hi_u32 v17, v10, v17
	v_mul_lo_u32 v17, v17, v21
	v_sub_u32_e32 v10, v10, v17
	v_sub_u32_e32 v17, v10, v21
	v_cmp_ge_u32_e64 s[18:19], v10, v21
	v_cndmask_b32_e64 v10, v10, v17, s[18:19]
	v_sub_u32_e32 v17, v10, v21
	v_cmp_ge_u32_e64 s[18:19], v10, v21
	v_cndmask_b32_e64 v10, v10, v17, s[18:19]
	v_xor_b32_e32 v10, v10, v16
	v_sub_u32_e32 v10, v10, v16
	v_ashrrev_i32_e32 v18, 31, v10
	s_waitcnt vmcnt(1)
	v_mul_lo_u32 v19, v19, v10
	s_waitcnt vmcnt(0)
	v_mad_u64_u32 v[16:17], s[18:19], v20, v10, v[0:1]
	v_mul_lo_u32 v10, v20, v18
	v_cmp_ne_u32_e64 s[16:17], 0, v2
	v_add3_u32 v17, v19, v17, v10
	v_ffbl_b32_e32 v2, v2
	ds_write2_b64 v0, v[2:3], v[16:17] offset1:6
	s_and_saveexec_b64 s[18:19], s[16:17]
	s_xor_b64 s[18:19], exec, s[18:19]
	s_cbranch_execz .LBB13_301
; %bb.300:                              ;   in Loop: Header=BB13_289 Depth=2
	v_mul_lo_u32 v3, v14, v12
	v_add_u32_e32 v2, 1, v2
	v_ashrrev_i32_e32 v2, v2, v3
	v_sub_u32_e32 v10, 0, v2
	v_max_i32_e32 v10, v2, v10
	v_ashrrev_i32_e32 v3, 31, v2
	v_mul_hi_u32 v12, v10, v15
	v_xor_b32_e32 v3, v3, v13
	v_mul_lo_u32 v13, v12, v9
	v_sub_u32_e32 v10, v10, v13
	v_add_u32_e32 v13, 1, v12
	v_cmp_ge_u32_e64 s[16:17], v10, v9
	v_cndmask_b32_e64 v12, v12, v13, s[16:17]
	v_sub_u32_e32 v13, v10, v9
	v_cndmask_b32_e64 v10, v10, v13, s[16:17]
	v_add_u32_e32 v13, 1, v12
	v_cmp_ge_u32_e64 s[16:17], v10, v9
	v_cndmask_b32_e64 v9, v12, v13, s[16:17]
	v_xor_b32_e32 v9, v9, v3
	v_sub_u32_e32 v3, v9, v3
	v_mul_lo_u32 v4, v3, v4
	v_sub_u32_e32 v2, v2, v4
	v_mul_lo_u32 v2, v2, v5
	ds_write2_b32 v0, v2, v3 offset0:2 offset1:4
	s_and_b64 s[24:25], vcc, exec
.LBB13_301:                             ;   in Loop: Header=BB13_289 Depth=2
	s_andn2_saveexec_b64 s[16:17], s[18:19]
	s_cbranch_execz .LBB13_303
; %bb.302:                              ;   in Loop: Header=BB13_289 Depth=2
	s_andn2_b64 s[18:19], s[24:25], exec
	s_and_b64 s[24:25], vcc, exec
	s_or_b64 s[24:25], s[18:19], s[24:25]
	ds_write_b32 v0, v53 offset:8
.LBB13_303:                             ;   in Loop: Header=BB13_289 Depth=2
	s_or_b64 exec, exec, s[16:17]
	s_and_b64 s[16:17], s[24:25], exec
.LBB13_304:                             ;   in Loop: Header=BB13_289 Depth=2
	s_or_b64 exec, exec, s[22:23]
	s_and_b64 s[40:41], s[16:17], exec
                                        ; implicit-def: $vgpr5
.LBB13_305:                             ;   in Loop: Header=BB13_289 Depth=2
	s_andn2_saveexec_b64 s[42:43], s[20:21]
	s_cbranch_execz .LBB13_319
; %bb.306:                              ;   in Loop: Header=BB13_289 Depth=2
	buffer_load_dword v2, off, s[0:3], s32 offset:68
	buffer_load_dword v9, off, s[0:3], s32 offset:36
	;; [unrolled: 1-line block ×8, first 2 shown]
	v_sub_u32_e32 v13, 0, v7
	v_ashrrev_i32_e32 v14, 31, v7
	v_max_i32_e32 v23, v7, v13
	s_waitcnt vmcnt(7)
	v_mul_lo_u32 v18, v2, v7
	s_waitcnt vmcnt(6)
	v_sub_u32_e32 v20, 0, v9
	s_waitcnt vmcnt(5)
	v_sub_u32_e32 v21, 0, v12
	v_max_i32_e32 v24, v9, v20
	v_max_i32_e32 v20, v12, v21
	v_cvt_f32_u32_e32 v22, v24
	v_cvt_f32_u32_e32 v27, v20
	v_ashrrev_i32_e32 v19, 31, v12
	s_waitcnt vmcnt(4)
	v_add_u32_e32 v13, v18, v4
	v_rcp_iflag_f32_e32 v22, v22
	v_rcp_iflag_f32_e32 v27, v27
	v_xor_b32_e32 v25, v14, v19
	v_ffbl_b32_e32 v14, v13
	v_mul_f32_e32 v22, 0x4f7ffffe, v22
	v_mul_f32_e32 v27, 0x4f7ffffe, v27
	v_cvt_u32_f32_e32 v22, v22
	v_cvt_u32_f32_e32 v27, v27
	v_cmp_eq_u32_e32 vcc, 0, v13
	s_waitcnt vmcnt(3)
	v_cndmask_b32_e32 v3, v14, v3, vcc
	v_sub_u32_e32 v26, 0, v24
	v_sub_u32_e32 v28, 0, v20
	v_lshlrev_b32_e64 v21, v3, -1
	v_add_u32_e32 v14, v21, v13
	v_mul_lo_u32 v26, v26, v22
	v_mul_lo_u32 v28, v28, v27
	s_waitcnt vmcnt(2)
	v_add3_u32 v10, v10, v9, v14
	v_mul_hi_u32 v26, v22, v26
	v_mul_hi_u32 v28, v27, v28
	v_sub_u32_e32 v30, 0, v10
	v_add_u32_e32 v26, v22, v26
	v_add_u32_e32 v22, v27, v28
	v_ashrrev_i32_e32 v29, 31, v10
	v_max_i32_e32 v10, v10, v30
	v_mul_hi_u32 v27, v23, v22
	v_mul_hi_u32 v26, v10, v26
	v_mul_lo_u32 v28, v27, v20
	v_mul_lo_u32 v26, v26, v24
	v_sub_u32_e32 v23, v23, v28
	v_add_u32_e32 v30, 1, v27
	v_sub_u32_e32 v10, v10, v26
	v_cmp_ge_u32_e32 vcc, v23, v20
	v_sub_u32_e32 v28, v23, v20
	v_sub_u32_e32 v26, v10, v24
	v_cndmask_b32_e32 v27, v27, v30, vcc
	v_cmp_ge_u32_e64 s[24:25], v10, v24
	v_cndmask_b32_e32 v23, v23, v28, vcc
	v_cndmask_b32_e64 v10, v10, v26, s[24:25]
	v_add_u32_e32 v26, 1, v27
	v_cmp_ge_u32_e32 vcc, v23, v20
	v_sub_u32_e32 v28, v10, v24
	v_cndmask_b32_e32 v23, v27, v26, vcc
	v_cmp_ge_u32_e32 vcc, v10, v24
	v_cndmask_b32_e32 v10, v10, v28, vcc
	v_xor_b32_e32 v23, v23, v25
	v_xor_b32_e32 v10, v10, v29
	v_sub_u32_e32 v23, v23, v25
	v_sub_u32_e32 v10, v10, v29
	v_mul_lo_u32 v25, v23, v12
	v_cmp_eq_u32_e32 vcc, 0, v3
	v_add_u32_e32 v15, -1, v12
	v_add_u32_e32 v2, v13, v2
	v_cndmask_b32_e64 v24, v23, 0, vcc
	v_ashrrev_i32_e32 v23, 31, v10
	s_waitcnt vmcnt(1)
	v_mul_lo_u32 v17, v17, v10
	s_waitcnt vmcnt(0)
	v_mad_u64_u32 v[26:27], s[24:25], v16, v10, v[0:1]
	v_sub_u32_e32 v10, v7, v25
	v_cmp_ge_i32_e64 s[18:19], v2, v9
	v_cmp_eq_u32_e64 s[24:25], v10, v15
	v_cmp_gt_i32_e64 s[20:21], v2, v9
	s_or_b64 s[18:19], s[24:25], s[18:19]
	v_mul_lo_u32 v23, v16, v23
	v_mul_lo_u32 v16, v10, v5
	v_cndmask_b32_e64 v10, 0, 1, s[18:19]
	s_or_b64 s[18:19], s[24:25], s[20:21]
	s_and_b64 s[18:19], vcc, s[18:19]
	v_cmp_ne_u32_e64 s[16:17], 0, v3
	v_cmp_ne_u32_e64 s[22:23], 0, v14
	v_ffbl_b32_e32 v2, v14
	v_add3_u32 v27, v17, v27, v23
	v_cndmask_b32_e64 v25, 0, 1, s[18:19]
	v_mov_b32_e32 v17, v16
	ds_write_b64 v0, v[26:27] offset:48
	ds_write2_b64 v0, v[2:3], v[16:17] offset1:1
	ds_write_b32 v0, v10 offset:24
	ds_write_b64 v0, v[24:25] offset:16
	s_and_saveexec_b64 s[18:19], s[22:23]
	s_xor_b64 s[20:21], exec, s[18:19]
	s_cbranch_execz .LBB13_314
; %bb.307:                              ;   in Loop: Header=BB13_289 Depth=2
	v_sub_u32_e32 v3, 0, v4
	v_cmp_eq_u32_e64 s[18:19], v21, v3
	s_and_saveexec_b64 s[22:23], s[18:19]
	s_cbranch_execz .LBB13_313
; %bb.308:                              ;   in Loop: Header=BB13_289 Depth=2
	v_add_u32_e32 v3, 1, v2
	v_ashrrev_i32_e32 v3, v3, v18
	v_sub_u32_e32 v10, 0, v3
	v_max_i32_e32 v10, v3, v10
	v_mul_hi_u32 v16, v10, v22
	v_mul_lo_u32 v17, v16, v20
	v_sub_u32_e32 v10, v10, v17
	v_add_u32_e32 v17, 1, v16
	v_cmp_ge_u32_e64 s[18:19], v10, v20
	v_cndmask_b32_e64 v16, v16, v17, s[18:19]
	v_sub_u32_e32 v17, v10, v20
	v_cndmask_b32_e64 v10, v10, v17, s[18:19]
	v_ashrrev_i32_e32 v4, 31, v3
	v_add_u32_e32 v17, 1, v16
	v_cmp_ge_u32_e64 s[18:19], v10, v20
	v_xor_b32_e32 v4, v4, v19
	v_cndmask_b32_e64 v10, v16, v17, s[18:19]
	v_xor_b32_e32 v10, v10, v4
	v_sub_u32_e32 v4, v10, v4
	v_mul_lo_u32 v10, v4, v12
	v_sub_u32_e32 v10, v3, v10
	v_mul_lo_u32 v5, v10, v5
	ds_write_b32 v0, v5 offset:8
                                        ; implicit-def: $sgpr18
	s_and_saveexec_b64 s[24:25], s[16:17]
	s_xor_b64 s[16:17], exec, s[24:25]
; %bb.309:                              ;   in Loop: Header=BB13_289 Depth=2
	s_mov_b32 s18, 0
                                        ; implicit-def: $vgpr10
                                        ; implicit-def: $vgpr15
                                        ; implicit-def: $vgpr3
                                        ; implicit-def: $vgpr2
; %bb.310:                              ;   in Loop: Header=BB13_289 Depth=2
	s_or_saveexec_b64 s[24:25], s[16:17]
	v_mov_b32_e32 v5, s18
	s_xor_b64 exec, exec, s[24:25]
; %bb.311:                              ;   in Loop: Header=BB13_289 Depth=2
	v_lshlrev_b32_e32 v3, 1, v3
	v_add_lshl_u32 v2, v3, 3, v2
	v_cmp_eq_u32_e64 s[16:17], v10, v15
	v_cmp_ge_i32_e64 s[18:19], v2, v9
	s_or_b64 s[16:17], s[16:17], s[18:19]
	v_cndmask_b32_e64 v5, 0, 1, s[16:17]
	v_mov_b32_e32 v4, 0
; %bb.312:                              ;   in Loop: Header=BB13_289 Depth=2
	s_or_b64 exec, exec, s[24:25]
	ds_write_b64 v0, v[4:5] offset:16
.LBB13_313:                             ;   in Loop: Header=BB13_289 Depth=2
	s_or_b64 exec, exec, s[22:23]
.LBB13_314:                             ;   in Loop: Header=BB13_289 Depth=2
	s_andn2_saveexec_b64 s[16:17], s[20:21]
	s_cbranch_execz .LBB13_316
; %bb.315:                              ;   in Loop: Header=BB13_289 Depth=2
	ds_write2_b32 v0, v53, v8 offset0:2 offset1:5
.LBB13_316:                             ;   in Loop: Header=BB13_289 Depth=2
	s_or_b64 exec, exec, s[16:17]
	v_cmp_ge_i32_e64 s[18:19], v13, v9
	v_cmp_lt_i32_e64 s[16:17], v14, v9
	s_and_b64 s[16:17], s[18:19], s[16:17]
	s_and_b64 s[20:21], vcc, s[16:17]
	s_and_saveexec_b64 s[16:17], s[20:21]
	s_cbranch_execz .LBB13_318
; %bb.317:                              ;   in Loop: Header=BB13_289 Depth=2
	s_andn2_b64 s[18:19], s[18:19], exec
	ds_write2_b32 v0, v53, v53 offset0:1 offset1:3
	ds_write_b32 v0, v8 offset:24
.LBB13_318:                             ;   in Loop: Header=BB13_289 Depth=2
	s_or_b64 exec, exec, s[16:17]
	s_andn2_b64 s[16:17], s[40:41], exec
	s_and_b64 s[18:19], s[18:19], exec
	s_or_b64 s[40:41], s[16:17], s[18:19]
.LBB13_319:                             ;   in Loop: Header=BB13_289 Depth=2
	s_or_b64 exec, exec, s[42:43]
	s_and_b64 s[16:17], s[40:41], exec
                                        ; implicit-def: $vgpr5
.LBB13_320:                             ;   in Loop: Header=BB13_289 Depth=2
	s_andn2_saveexec_b64 s[18:19], s[38:39]
	s_cbranch_execz .LBB13_326
; %bb.321:                              ;   in Loop: Header=BB13_289 Depth=2
	v_cmp_eq_u32_e32 vcc, 0, v6
	s_mov_b64 s[22:23], 0
	s_and_saveexec_b64 s[20:21], vcc
	s_cbranch_execz .LBB13_325
; %bb.322:                              ;   in Loop: Header=BB13_289 Depth=2
	buffer_load_dword v2, off, s[0:3], s32 offset:60
	buffer_load_dword v12, off, s[0:3], s32 offset:68
	;; [unrolled: 1-line block ×7, first 2 shown]
	v_sub_u32_e32 v3, 0, v7
	v_max_i32_e32 v17, v7, v3
	v_ashrrev_i32_e32 v15, 31, v7
	v_mov_b32_e32 v9, v53
	ds_write2_b32 v0, v53, v8 offset0:3 offset1:4
	ds_write_b64 v0, v[8:9]
	v_mov_b32_e32 v9, v8
	s_waitcnt vmcnt(5)
	v_mad_u64_u32 v[2:3], s[22:23], v12, v7, v[2:3]
	s_waitcnt vmcnt(4)
	v_sub_u32_e32 v3, 0, v4
	s_waitcnt vmcnt(3)
	v_sub_u32_e32 v18, 0, v10
	v_max_i32_e32 v3, v4, v3
	v_add_u32_e32 v19, -1, v10
	v_max_i32_e32 v10, v10, v18
	v_cvt_f32_u32_e32 v18, v3
	v_cvt_f32_u32_e32 v20, v10
	s_waitcnt vmcnt(2)
	v_add_u32_e32 v13, v13, v2
	v_sub_u32_e32 v22, 0, v13
	v_rcp_iflag_f32_e32 v18, v18
	v_rcp_iflag_f32_e32 v20, v20
	v_sub_u32_e32 v23, 0, v3
	v_ashrrev_i32_e32 v21, 31, v13
	v_mul_f32_e32 v18, 0x4f7ffffe, v18
	v_mul_f32_e32 v20, 0x4f7ffffe, v20
	v_cvt_u32_f32_e32 v18, v18
	v_cvt_u32_f32_e32 v20, v20
	v_sub_u32_e32 v24, 0, v10
	v_max_i32_e32 v13, v13, v22
	v_mul_lo_u32 v22, v23, v18
	v_mul_lo_u32 v23, v24, v20
	v_mul_hi_u32 v22, v18, v22
	v_mul_hi_u32 v23, v20, v23
	v_add_u32_e32 v18, v18, v22
	v_add_u32_e32 v20, v20, v23
	v_mul_hi_u32 v18, v13, v18
	v_mul_hi_u32 v20, v17, v20
	v_mul_lo_u32 v18, v18, v3
	v_mul_lo_u32 v20, v20, v10
	v_sub_u32_e32 v13, v13, v18
	v_sub_u32_e32 v17, v17, v20
	;; [unrolled: 1-line block ×3, first 2 shown]
	v_cmp_ge_u32_e32 vcc, v13, v3
	v_sub_u32_e32 v20, v17, v10
	v_cndmask_b32_e32 v13, v13, v18, vcc
	v_cmp_ge_u32_e32 vcc, v17, v10
	v_cndmask_b32_e32 v17, v17, v20, vcc
	v_sub_u32_e32 v18, v13, v3
	v_cmp_ge_u32_e32 vcc, v13, v3
	v_sub_u32_e32 v20, v17, v10
	v_cndmask_b32_e32 v3, v13, v18, vcc
	v_cmp_ge_u32_e32 vcc, v17, v10
	v_cndmask_b32_e32 v10, v17, v20, vcc
	v_xor_b32_e32 v3, v3, v21
	v_xor_b32_e32 v10, v10, v15
	v_sub_u32_e32 v3, v3, v21
	v_sub_u32_e32 v10, v10, v15
	v_ashrrev_i32_e32 v13, 31, v3
	s_waitcnt vmcnt(1)
	v_mul_lo_u32 v17, v14, v3
	s_waitcnt vmcnt(0)
	v_mad_u64_u32 v[14:15], s[22:23], v16, v3, v[0:1]
	v_mul_lo_u32 v3, v10, v5
	v_mul_lo_u32 v5, v16, v13
	v_cmp_ne_u32_e32 vcc, v10, v19
	ds_write_b32 v0, v3 offset:8
	v_add3_u32 v15, v17, v15, v5
	v_mov_b32_e32 v3, 1
	ds_write2_b64 v0, v[8:9], v[14:15] offset0:5 offset1:6
	s_and_saveexec_b64 s[22:23], vcc
; %bb.323:                              ;   in Loop: Header=BB13_289 Depth=2
	v_add_u32_e32 v3, v2, v12
	v_cmp_ge_i32_e32 vcc, v3, v4
	v_cndmask_b32_e64 v3, 0, 1, vcc
; %bb.324:                              ;   in Loop: Header=BB13_289 Depth=2
	s_or_b64 exec, exec, s[22:23]
	v_cmp_ge_i32_e32 vcc, v2, v4
	s_and_b64 s[22:23], vcc, exec
	ds_write2_b32 v0, v3, v8 offset0:5 offset1:6
.LBB13_325:                             ;   in Loop: Header=BB13_289 Depth=2
	s_or_b64 exec, exec, s[20:21]
	s_andn2_b64 s[16:17], s[16:17], exec
	s_and_b64 s[20:21], s[22:23], exec
	s_or_b64 s[16:17], s[16:17], s[20:21]
.LBB13_326:                             ;   in Loop: Header=BB13_289 Depth=2
	s_or_b64 exec, exec, s[18:19]
	s_orn2_b64 s[18:19], s[16:17], exec
.LBB13_327:                             ;   in Loop: Header=BB13_289 Depth=2
	s_or_b64 exec, exec, s[28:29]
	buffer_load_dword v2, off, s[0:3], s32 offset:52
	v_add_u32_e32 v3, 1, v7
	buffer_store_dword v3, off, s[0:3], s32 offset:64
                                        ; implicit-def: $sgpr22_sgpr23
	s_waitcnt vmcnt(1)
	v_max_i32_e32 v4, v11, v2
	v_cmp_le_i32_e32 vcc, v4, v3
	s_and_saveexec_b64 s[16:17], vcc
	s_xor_b64 s[20:21], exec, s[16:17]
	s_cbranch_execz .LBB13_384
; %bb.328:                              ;   in Loop: Header=BB13_289 Depth=2
	v_cmp_lt_i32_e32 vcc, 1, v6
                                        ; implicit-def: $vgpr2
	s_and_saveexec_b64 s[16:17], vcc
	s_xor_b64 s[16:17], exec, s[16:17]
	s_cbranch_execz .LBB13_332
; %bb.329:                              ;   in Loop: Header=BB13_289 Depth=2
	v_cmp_eq_u32_e32 vcc, 2, v6
	v_mov_b32_e32 v2, 1
	s_and_saveexec_b64 s[22:23], vcc
	s_cbranch_execz .LBB13_331
; %bb.330:                              ;   in Loop: Header=BB13_289 Depth=2
	buffer_load_dword v2, off, s[0:3], s32 offset:72
	s_waitcnt vmcnt(0)
	v_lshrrev_b32_e32 v3, 31, v2
	v_add_u32_e32 v4, 1, v2
	v_add_u32_e32 v2, v2, v3
	v_ashrrev_i32_e32 v2, 1, v2
	v_cmp_gt_u32_e32 vcc, 3, v4
	buffer_store_dword v2, off, s[0:3], s32 offset:72
	v_cndmask_b32_e64 v2, 2, 1, vcc
.LBB13_331:                             ;   in Loop: Header=BB13_289 Depth=2
	s_or_b64 exec, exec, s[22:23]
.LBB13_332:                             ;   in Loop: Header=BB13_289 Depth=2
	s_andn2_saveexec_b64 s[16:17], s[16:17]
	s_cbranch_execz .LBB13_336
; %bb.333:                              ;   in Loop: Header=BB13_289 Depth=2
	v_cmp_eq_u32_e32 vcc, 1, v6
	v_mov_b32_e32 v2, 1
	s_and_saveexec_b64 s[22:23], vcc
	s_cbranch_execz .LBB13_335
; %bb.334:                              ;   in Loop: Header=BB13_289 Depth=2
	buffer_load_dword v2, off, s[0:3], s32 offset:60
	s_waitcnt vmcnt(0)
	v_and_b32_e32 v2, 0x80000001, v2
	v_cmp_ne_u32_e32 vcc, 1, v2
	v_cndmask_b32_e64 v2, 0, 1, vcc
.LBB13_335:                             ;   in Loop: Header=BB13_289 Depth=2
	s_or_b64 exec, exec, s[22:23]
.LBB13_336:                             ;   in Loop: Header=BB13_289 Depth=2
	s_or_b64 exec, exec, s[16:17]
	v_cmp_eq_u32_e32 vcc, 0, v6
	v_cmp_ne_u32_e64 s[24:25], 0, v6
	s_mov_b64 s[16:17], -1
	buffer_store_dword v2, off, s[0:3], s32 offset:76
	s_and_saveexec_b64 s[22:23], s[24:25]
	s_cbranch_execz .LBB13_346
; %bb.337:                              ;   in Loop: Header=BB13_289 Depth=2
	v_cmp_eq_u32_e64 s[16:17], 1, v6
	s_mov_b64 s[38:39], 0
	s_and_saveexec_b64 s[28:29], s[16:17]
	s_cbranch_execz .LBB13_339
; %bb.338:                              ;   in Loop: Header=BB13_289 Depth=2
	buffer_load_dword v3, off, s[0:3], s32 offset:60
	s_waitcnt vmcnt(0)
	v_and_b32_e32 v3, 1, v3
	v_cmp_eq_u32_e64 s[16:17], 0, v3
	s_and_b64 s[38:39], s[16:17], exec
.LBB13_339:                             ;   in Loop: Header=BB13_289 Depth=2
	s_or_b64 exec, exec, s[28:29]
	s_orn2_b64 s[16:17], s[38:39], exec
	s_or_b64 exec, exec, s[22:23]
	s_and_saveexec_b64 s[22:23], s[16:17]
	s_cbranch_execnz .LBB13_347
.LBB13_340:                             ;   in Loop: Header=BB13_289 Depth=2
	s_or_b64 exec, exec, s[22:23]
	s_mov_b64 s[16:17], 0
	s_and_saveexec_b64 s[22:23], vcc
	s_cbranch_execz .LBB13_342
.LBB13_341:                             ;   in Loop: Header=BB13_289 Depth=2
	buffer_load_dword v3, off, s[0:3], s32 offset:68
	buffer_load_dword v4, off, s[0:3], s32 offset:60
	s_andn2_b64 s[24:25], s[24:25], exec
	s_mov_b64 s[16:17], exec
	s_waitcnt vmcnt(1)
	v_lshrrev_b32_e32 v5, 31, v3
	v_add_u32_e32 v3, v3, v5
	v_ashrrev_i32_e32 v3, 1, v3
	s_waitcnt vmcnt(0)
	v_cmp_ne_u32_e32 vcc, v4, v3
	s_and_b64 s[28:29], vcc, exec
	s_or_b64 s[24:25], s[24:25], s[28:29]
.LBB13_342:                             ;   in Loop: Header=BB13_289 Depth=2
	s_or_b64 exec, exec, s[22:23]
                                        ; implicit-def: $sgpr22_sgpr23
	s_and_saveexec_b64 s[28:29], s[24:25]
	s_xor_b64 s[24:25], exec, s[28:29]
	s_cbranch_execz .LBB13_356
; %bb.343:                              ;   in Loop: Header=BB13_289 Depth=2
	buffer_load_dword v3, off, s[0:3], s32 offset:56
	v_cmp_lt_u32_e32 vcc, 1, v2
	buffer_store_dword v8, off, s[0:3], s32 offset:64
	s_waitcnt vmcnt(1)
	buffer_store_dword v3, off, s[0:3], s32 offset:48
	s_and_saveexec_b64 s[22:23], vcc
	s_cbranch_execz .LBB13_345
; %bb.344:                              ;   in Loop: Header=BB13_289 Depth=2
	buffer_load_dword v2, off, s[0:3], s32 offset:72
	v_sub_u32_e32 v6, 0, v3
	v_max_i32_e32 v6, v3, v6
	s_waitcnt vmcnt(0)
	v_lshlrev_b32_e32 v2, 1, v2
	v_sub_u32_e32 v4, 0, v2
	v_max_i32_e32 v4, v2, v4
	v_cvt_f32_u32_e32 v5, v4
	v_xor_b32_e32 v2, v3, v2
	v_sub_u32_e32 v3, 0, v4
	v_ashrrev_i32_e32 v2, 31, v2
	v_rcp_iflag_f32_e32 v5, v5
	v_mul_f32_e32 v5, 0x4f7ffffe, v5
	v_cvt_u32_f32_e32 v5, v5
	v_mul_lo_u32 v3, v3, v5
	v_mul_hi_u32 v3, v5, v3
	v_add_u32_e32 v3, v5, v3
	v_mul_hi_u32 v3, v6, v3
	v_mul_lo_u32 v5, v3, v4
	v_sub_u32_e32 v5, v6, v5
	v_add_u32_e32 v7, 1, v3
	v_cmp_ge_u32_e32 vcc, v5, v4
	v_sub_u32_e32 v6, v5, v4
	v_cndmask_b32_e32 v3, v3, v7, vcc
	v_cndmask_b32_e32 v5, v5, v6, vcc
	v_add_u32_e32 v6, 1, v3
	v_cmp_ge_u32_e32 vcc, v5, v4
	v_cndmask_b32_e32 v3, v3, v6, vcc
	v_xor_b32_e32 v3, v3, v2
	v_sub_u32_e32 v2, v3, v2
	buffer_store_dword v2, off, s[0:3], s32 offset:48
.LBB13_345:                             ;   in Loop: Header=BB13_289 Depth=2
	s_or_b64 exec, exec, s[22:23]
	s_mov_b64 s[22:23], 0
	s_andn2_b64 s[16:17], s[16:17], exec
	s_or_b64 exec, exec, s[24:25]
	s_and_saveexec_b64 s[24:25], s[16:17]
	s_cbranch_execz .LBB13_383
	s_branch .LBB13_357
.LBB13_346:                             ;   in Loop: Header=BB13_289 Depth=2
	s_or_b64 exec, exec, s[22:23]
	s_and_saveexec_b64 s[22:23], s[16:17]
	s_cbranch_execz .LBB13_340
.LBB13_347:                             ;   in Loop: Header=BB13_289 Depth=2
	buffer_load_dword v3, off, s[0:3], s32 offset:80
	buffer_load_dword v4, off, s[0:3], s32 offset:84
	s_waitcnt vmcnt(1)
	v_cmp_lt_i32_e64 s[16:17], 0, v3
	s_and_saveexec_b64 s[28:29], s[16:17]
	s_cbranch_execz .LBB13_377
; %bb.348:                              ;   in Loop: Header=BB13_289 Depth=2
	s_mov_b32 s46, 0
	s_mov_b64 s[38:39], 0
	v_mov_b32_e32 v5, v50
	s_branch .LBB13_352
.LBB13_349:                             ;   in Loop: Header=BB13_352 Depth=3
	s_or_b64 exec, exec, s[44:45]
	v_add_u32_e32 v4, 1, v7
	buffer_store_dword v4, v5, s[0:3], 0 offen offset:128
.LBB13_350:                             ;   in Loop: Header=BB13_352 Depth=3
	s_or_b64 exec, exec, s[42:43]
	v_mov_b32_e32 v4, v6
.LBB13_351:                             ;   in Loop: Header=BB13_352 Depth=3
	s_or_b64 exec, exec, s[40:41]
	s_add_i32 s46, s46, 1
	v_cmp_eq_u32_e64 s[16:17], s46, v3
	s_or_b64 s[38:39], s[16:17], s[38:39]
	v_add_u32_e32 v5, 4, v5
	s_andn2_b64 exec, exec, s[38:39]
	s_cbranch_execz .LBB13_376
.LBB13_352:                             ;   Parent Loop BB13_4 Depth=1
                                        ;     Parent Loop BB13_289 Depth=2
                                        ; =>    This Inner Loop Header: Depth=3
	buffer_load_dword v6, v5, s[0:3], 0 offen
	s_waitcnt vmcnt(0)
	v_add_u32_e32 v6, -1, v6
	v_cmp_eq_u32_e64 s[16:17], 0, v6
	buffer_store_dword v6, v5, s[0:3], 0 offen
	s_and_saveexec_b64 s[40:41], s[16:17]
	s_cbranch_execz .LBB13_351
; %bb.353:                              ;   in Loop: Header=BB13_352 Depth=3
	s_lshl_b32 s47, 1, s46
	v_xor_b32_e32 v6, s47, v4
	v_mov_b32_e32 v7, s47
	buffer_store_dword v6, off, s[0:3], s32 offset:84
	buffer_store_dword v7, v5, s[0:3], 0 offen
	v_and_b32_e32 v7, s47, v4
	v_cmp_ne_u32_e64 s[16:17], 0, v7
	s_and_saveexec_b64 s[42:43], s[16:17]
	s_cbranch_execz .LBB13_350
; %bb.354:                              ;   in Loop: Header=BB13_352 Depth=3
	buffer_load_dword v7, v5, s[0:3], 0 offen offset:128
	s_waitcnt vmcnt(0)
	v_ffbl_b32_e32 v9, v7
	v_cmp_eq_u32_e64 s[16:17], 0, v7
	v_cndmask_b32_e64 v9, v9, v3, s[16:17]
	v_add3_u32 v9, s47, -1, v9
	v_cmp_eq_u32_e64 s[16:17], 0, v9
	buffer_store_dword v9, v5, s[0:3], 0 offen
	s_and_saveexec_b64 s[44:45], s[16:17]
	s_cbranch_execz .LBB13_349
; %bb.355:                              ;   in Loop: Header=BB13_352 Depth=3
	v_mov_b32_e32 v6, s47
	buffer_store_dword v4, off, s[0:3], s32 offset:84
	buffer_store_dword v6, v5, s[0:3], 0 offen
	v_mov_b32_e32 v6, v4
	s_branch .LBB13_349
.LBB13_356:                             ;   in Loop: Header=BB13_289 Depth=2
	s_or_b64 exec, exec, s[24:25]
	s_and_saveexec_b64 s[24:25], s[16:17]
	s_cbranch_execz .LBB13_383
.LBB13_357:                             ;   in Loop: Header=BB13_289 Depth=2
	buffer_load_dword v2, off, s[0:3], s32 offset:24
	buffer_load_dword v4, off, s[0:3], s32 offset:8
	;; [unrolled: 1-line block ×3, first 2 shown]
                                        ; implicit-def: $sgpr28_sgpr29
	s_waitcnt vmcnt(2)
	v_ashrrev_i32_e32 v3, 31, v2
	v_add_co_u32_e32 v6, vcc, v0, v2
	v_addc_co_u32_e32 v7, vcc, v1, v3, vcc
	s_waitcnt vmcnt(0)
	v_cmp_le_u64_e32 vcc, v[4:5], v[6:7]
	buffer_store_dword v6, off, s[0:3], s32
	buffer_store_dword v7, off, s[0:3], s32 offset:4
	s_and_saveexec_b64 s[16:17], vcc
	s_xor_b64 s[16:17], exec, s[16:17]
	s_cbranch_execz .LBB13_359
; %bb.358:                              ;   in Loop: Header=BB13_289 Depth=2
	s_mov_b64 s[28:29], -1
	ds_write_b32 v0, v52 offset:32
                                        ; implicit-def: $vgpr4_vgpr5
                                        ; implicit-def: $vgpr6
                                        ; implicit-def: $vgpr2_vgpr3
.LBB13_359:                             ;   in Loop: Header=BB13_289 Depth=2
	s_andn2_saveexec_b64 s[38:39], s[16:17]
	s_cbranch_execz .LBB13_382
; %bb.360:                              ;   in Loop: Header=BB13_289 Depth=2
	buffer_load_dword v9, off, s[0:3], s32 offset:56
	buffer_load_dword v0, off, s[0:3], s32 offset:80
	v_sub_co_u32_e32 v4, vcc, v4, v6
	v_subb_co_u32_e32 v5, vcc, v5, v7, vcc
	v_cmp_lt_i64_e32 vcc, v[2:3], v[4:5]
	v_cndmask_b32_e32 v1, v4, v2, vcc
	buffer_store_dword v1, off, s[0:3], s32 offset:28
	buffer_store_dword v8, off, s[0:3], s32 offset:84
	s_waitcnt vmcnt(3)
	v_lshrrev_b32_e32 v1, 31, v9
	v_add_u32_e32 v2, -2, v9
	v_add_u32_e32 v1, v9, v1
	v_cmp_gt_u32_e32 vcc, -3, v2
	s_waitcnt vmcnt(2)
	v_cmp_lt_i32_e64 s[16:17], 0, v0
	v_cndmask_b32_e64 v3, 1, 2, vcc
	v_ashrrev_i32_e32 v2, 1, v1
	v_mov_b32_e32 v1, 0
	buffer_store_dword v3, off, s[0:3], s32 offset:76
	buffer_store_dword v2, off, s[0:3], s32 offset:72
	s_and_saveexec_b64 s[40:41], s[16:17]
	s_cbranch_execz .LBB13_379
; %bb.361:                              ;   in Loop: Header=BB13_289 Depth=2
	v_cmp_ne_u32_e64 s[16:17], 1, v0
	s_mov_b64 s[44:45], -1
	v_mov_b32_e32 v3, 0
	s_and_saveexec_b64 s[42:43], s[16:17]
	s_cbranch_execz .LBB13_365
; %bb.362:                              ;   in Loop: Header=BB13_289 Depth=2
	v_and_b32_e32 v3, 0x7ffffffe, v0
	v_mov_b32_e32 v1, v0
	s_mov_b32 s46, 1
	s_mov_b32 s47, 0
	s_mov_b64 s[44:45], 0
	v_mov_b32_e32 v4, v3
	v_mov_b32_e32 v5, v50
.LBB13_363:                             ;   Parent Loop BB13_4 Depth=1
                                        ;     Parent Loop BB13_289 Depth=2
                                        ; =>    This Inner Loop Header: Depth=3
	v_add_u32_e32 v4, -2, v4
	v_subrev_u32_e32 v6, s47, v0
	v_subrev_u32_e32 v7, s46, v1
	s_add_i32 s47, s47, 2
	s_add_i32 s46, s46, 2
	v_cmp_eq_u32_e64 s[16:17], 0, v4
	buffer_store_dword v51, v5, s[0:3], 0 offen offset:132
	buffer_store_dword v51, v5, s[0:3], 0 offen offset:128
	;; [unrolled: 1-line block ×3, first 2 shown]
	buffer_store_dword v6, v5, s[0:3], 0 offen
	s_or_b64 s[44:45], s[16:17], s[44:45]
	v_add_u32_e32 v5, 8, v5
	s_andn2_b64 exec, exec, s[44:45]
	s_cbranch_execnz .LBB13_363
; %bb.364:                              ;   in Loop: Header=BB13_289 Depth=2
	s_or_b64 exec, exec, s[44:45]
	v_cmp_ne_u32_e64 s[16:17], v0, v3
	s_orn2_b64 s[44:45], s[16:17], exec
.LBB13_365:                             ;   in Loop: Header=BB13_289 Depth=2
	s_or_b64 exec, exec, s[42:43]
	s_and_saveexec_b64 s[42:43], s[44:45]
	s_cbranch_execz .LBB13_368
; %bb.366:                              ;   in Loop: Header=BB13_289 Depth=2
	v_lshl_add_u32 v1, v3, 2, v50
	v_sub_u32_e32 v3, v0, v3
	s_mov_b64 s[44:45], 0
.LBB13_367:                             ;   Parent Loop BB13_4 Depth=1
                                        ;     Parent Loop BB13_289 Depth=2
                                        ; =>    This Inner Loop Header: Depth=3
	buffer_store_dword v3, v1, s[0:3], 0 offen
	buffer_store_dword v51, v1, s[0:3], 0 offen offset:128
	v_add_u32_e32 v3, -1, v3
	v_cmp_eq_u32_e64 s[16:17], 0, v3
	s_or_b64 s[44:45], s[16:17], s[44:45]
	v_add_u32_e32 v1, 4, v1
	s_andn2_b64 exec, exec, s[44:45]
	s_cbranch_execnz .LBB13_367
.LBB13_368:                             ;   in Loop: Header=BB13_289 Depth=2
	s_or_b64 exec, exec, s[42:43]
	s_mov_b32 s51, 0
	s_mov_b64 s[42:43], 0
	v_mov_b32_e32 v1, 0
	v_mov_b32_e32 v3, v50
	s_branch .LBB13_372
.LBB13_369:                             ;   in Loop: Header=BB13_372 Depth=3
	s_or_b64 exec, exec, s[48:49]
	v_add_u32_e32 v1, 1, v5
	buffer_store_dword v1, v3, s[0:3], 0 offen offset:128
.LBB13_370:                             ;   in Loop: Header=BB13_372 Depth=3
	s_or_b64 exec, exec, s[46:47]
	v_mov_b32_e32 v1, v4
.LBB13_371:                             ;   in Loop: Header=BB13_372 Depth=3
	s_or_b64 exec, exec, s[44:45]
	s_add_i32 s51, s51, 1
	v_cmp_eq_u32_e64 s[16:17], s51, v0
	s_or_b64 s[42:43], s[16:17], s[42:43]
	v_add_u32_e32 v3, 4, v3
	s_andn2_b64 exec, exec, s[42:43]
	s_cbranch_execz .LBB13_378
.LBB13_372:                             ;   Parent Loop BB13_4 Depth=1
                                        ;     Parent Loop BB13_289 Depth=2
                                        ; =>    This Inner Loop Header: Depth=3
	buffer_load_dword v4, v3, s[0:3], 0 offen
	s_waitcnt vmcnt(0)
	v_add_u32_e32 v4, -1, v4
	v_cmp_eq_u32_e64 s[16:17], 0, v4
	buffer_store_dword v4, v3, s[0:3], 0 offen
	s_and_saveexec_b64 s[44:45], s[16:17]
	s_cbranch_execz .LBB13_371
; %bb.373:                              ;   in Loop: Header=BB13_372 Depth=3
	s_lshl_b32 s52, 1, s51
	v_xor_b32_e32 v4, s52, v1
	v_mov_b32_e32 v5, s52
	buffer_store_dword v4, off, s[0:3], s32 offset:84
	buffer_store_dword v5, v3, s[0:3], 0 offen
	v_and_b32_e32 v5, s52, v1
	v_cmp_ne_u32_e64 s[16:17], 0, v5
	s_and_saveexec_b64 s[46:47], s[16:17]
	s_cbranch_execz .LBB13_370
; %bb.374:                              ;   in Loop: Header=BB13_372 Depth=3
	buffer_load_dword v5, v3, s[0:3], 0 offen offset:128
	s_waitcnt vmcnt(0)
	v_ffbl_b32_e32 v6, v5
	v_cmp_eq_u32_e64 s[16:17], 0, v5
	v_cndmask_b32_e64 v6, v6, v0, s[16:17]
	v_add3_u32 v6, s52, -1, v6
	v_cmp_eq_u32_e64 s[16:17], 0, v6
	buffer_store_dword v6, v3, s[0:3], 0 offen
	s_and_saveexec_b64 s[48:49], s[16:17]
	s_cbranch_execz .LBB13_369
; %bb.375:                              ;   in Loop: Header=BB13_372 Depth=3
	v_mov_b32_e32 v4, s52
	buffer_store_dword v1, off, s[0:3], s32 offset:84
	buffer_store_dword v4, v3, s[0:3], 0 offen
	v_mov_b32_e32 v4, v1
	s_branch .LBB13_369
.LBB13_376:                             ;   in Loop: Header=BB13_289 Depth=2
	s_or_b64 exec, exec, s[38:39]
.LBB13_377:                             ;   in Loop: Header=BB13_289 Depth=2
	s_or_b64 exec, exec, s[28:29]
	s_waitcnt vmcnt(0)
	buffer_store_dword v4, off, s[0:3], s32 offset:60
	s_or_b64 exec, exec, s[22:23]
	s_mov_b64 s[16:17], 0
	s_and_saveexec_b64 s[22:23], vcc
	s_cbranch_execz .LBB13_342
	s_branch .LBB13_341
.LBB13_378:                             ;   in Loop: Header=BB13_289 Depth=2
	s_or_b64 exec, exec, s[42:43]
.LBB13_379:                             ;   in Loop: Header=BB13_289 Depth=2
	s_or_b64 exec, exec, s[40:41]
	buffer_store_dword v1, off, s[0:3], s32 offset:60
	buffer_store_dword v8, off, s[0:3], s32 offset:64
	s_and_saveexec_b64 s[16:17], vcc
	s_cbranch_execz .LBB13_381
; %bb.380:                              ;   in Loop: Header=BB13_289 Depth=2
	v_ashrrev_i32_e32 v0, 31, v2
	v_lshl_add_u32 v1, v2, 1, v0
	v_xor_b32_e32 v1, v1, v0
	v_cvt_f32_u32_e32 v2, v1
	v_ashrrev_i32_e32 v3, 31, v9
	v_sub_u32_e32 v4, 0, v9
	v_xor_b32_e32 v0, v3, v0
	v_rcp_iflag_f32_e32 v2, v2
	v_max_i32_e32 v3, v9, v4
	v_sub_u32_e32 v4, 0, v1
	v_mul_f32_e32 v2, 0x4f7ffffe, v2
	v_cvt_u32_f32_e32 v2, v2
	v_mul_lo_u32 v4, v4, v2
	v_mul_hi_u32 v4, v2, v4
	v_add_u32_e32 v2, v2, v4
	v_mul_hi_u32 v2, v3, v2
	v_mul_lo_u32 v4, v2, v1
	v_sub_u32_e32 v3, v3, v4
	v_add_u32_e32 v5, 1, v2
	v_cmp_ge_u32_e32 vcc, v3, v1
	v_sub_u32_e32 v4, v3, v1
	v_cndmask_b32_e32 v2, v2, v5, vcc
	v_cndmask_b32_e32 v3, v3, v4, vcc
	v_add_u32_e32 v4, 1, v2
	v_cmp_ge_u32_e32 vcc, v3, v1
	v_cndmask_b32_e32 v1, v2, v4, vcc
	v_xor_b32_e32 v1, v1, v0
	v_sub_u32_e32 v9, v1, v0
.LBB13_381:                             ;   in Loop: Header=BB13_289 Depth=2
	s_or_b64 exec, exec, s[16:17]
	s_andn2_b64 s[28:29], s[28:29], exec
	buffer_store_dword v9, off, s[0:3], s32 offset:48
.LBB13_382:                             ;   in Loop: Header=BB13_289 Depth=2
	s_or_b64 exec, exec, s[38:39]
	s_andn2_b64 s[16:17], s[22:23], exec
	s_and_b64 s[22:23], s[28:29], exec
	s_or_b64 s[22:23], s[16:17], s[22:23]
.LBB13_383:                             ;   in Loop: Header=BB13_289 Depth=2
	s_or_b64 exec, exec, s[24:25]
	s_and_b64 s[22:23], s[22:23], exec
                                        ; implicit-def: $vgpr6
                                        ; implicit-def: $vgpr0_vgpr1
                                        ; implicit-def: $vgpr11
                                        ; implicit-def: $vgpr2
                                        ; implicit-def: $vgpr7
.LBB13_384:                             ;   in Loop: Header=BB13_289 Depth=2
	s_andn2_saveexec_b64 s[20:21], s[20:21]
	s_cbranch_execz .LBB13_288
; %bb.385:                              ;   in Loop: Header=BB13_289 Depth=2
	buffer_load_dword v3, off, s[0:3], s32 offset:60
	v_cmp_eq_u32_e32 vcc, 0, v6
	s_waitcnt vmcnt(0)
	v_cmp_eq_u32_e64 s[16:17], 1, v3
	s_and_b64 s[24:25], vcc, s[16:17]
	s_and_saveexec_b64 s[16:17], s[24:25]
	s_cbranch_execz .LBB13_287
; %bb.386:                              ;   in Loop: Header=BB13_289 Depth=2
	buffer_load_dword v3, off, s[0:3], s32 offset:24
	buffer_load_dword v4, off, s[0:3], s32 offset:8
	;; [unrolled: 1-line block ×3, first 2 shown]
	s_waitcnt vmcnt(2)
	v_ashrrev_i32_e32 v6, 31, v3
	v_add_co_u32_e32 v0, vcc, v0, v3
	v_addc_co_u32_e32 v1, vcc, v1, v6, vcc
	s_waitcnt vmcnt(0)
	v_cmp_ge_u64_e32 vcc, v[0:1], v[4:5]
	s_and_b64 exec, exec, vcc
	s_cbranch_execz .LBB13_287
; %bb.387:                              ;   in Loop: Header=BB13_289 Depth=2
	v_sub_u32_e32 v0, 0, v2
	v_max_i32_e32 v0, v2, v0
	v_cvt_f32_u32_e32 v1, v0
	v_sub_u32_e32 v5, 0, v0
	v_add_u32_e32 v2, -1, v11
	v_sub_u32_e32 v3, 1, v11
	v_rcp_iflag_f32_e32 v1, v1
	v_max_i32_e32 v3, v2, v3
	v_ashrrev_i32_e32 v4, 31, v2
	v_mul_f32_e32 v1, 0x4f7ffffe, v1
	v_cvt_u32_f32_e32 v1, v1
	v_mul_lo_u32 v5, v5, v1
	v_mul_hi_u32 v5, v1, v5
	v_add_u32_e32 v1, v1, v5
	v_mul_hi_u32 v1, v3, v1
	v_mul_lo_u32 v1, v1, v0
	v_sub_u32_e32 v1, v3, v1
	v_sub_u32_e32 v3, v1, v0
	v_cmp_ge_u32_e32 vcc, v1, v0
	v_cndmask_b32_e32 v1, v1, v3, vcc
	v_sub_u32_e32 v3, v1, v0
	v_cmp_ge_u32_e32 vcc, v1, v0
	v_cndmask_b32_e32 v0, v1, v3, vcc
	v_xor_b32_e32 v0, v0, v4
	v_sub_u32_e32 v0, v4, v0
	v_add_u32_e32 v0, v2, v0
	v_cmp_ge_i32_e32 vcc, v7, v0
	s_and_b64 exec, exec, vcc
	s_cbranch_execz .LBB13_287
; %bb.388:                              ;   in Loop: Header=BB13_289 Depth=2
	ds_write_b32 v0, v51 offset:32
	s_branch .LBB13_287
.LBB13_389:
	v_readlane_b32 s30, v63, 38
	v_readlane_b32 s31, v63, 39
	;; [unrolled: 1-line block ×40, first 2 shown]
	v_accvgpr_read_b32 v62, a26             ;  Reload Reuse
	v_accvgpr_read_b32 v61, a25             ;  Reload Reuse
	;; [unrolled: 1-line block ×15, first 2 shown]
	s_or_saveexec_b64 s[4:5], -1
	buffer_load_dword v63, off, s[0:3], s32 offset:344 ; 4-byte Folded Reload
	s_mov_b64 exec, s[4:5]
	s_waitcnt vmcnt(0)
	s_setpc_b64 s[30:31]
.Lfunc_end13:
	.size	_Z45ncclDevFunc_AllGather_PAT_SIMPLE_Sum_i8_0_0_2v, .Lfunc_end13-_Z45ncclDevFunc_AllGather_PAT_SIMPLE_Sum_i8_0_0_2v
                                        ; -- End function
	.section	.AMDGPU.csdata,"",@progbits
; Function info:
; codeLenInByte = 15776
; NumSgprs: 76
; NumVgprs: 64
; NumAgprs: 27
; TotalNumVgprs: 91
; ScratchSize: 352
; MemoryBound: 0
	.text
	.p2align	2                               ; -- Begin function _ZN12_GLOBAL__N_17runRingIa7FuncSumIaE7ProtoLLLi0ELi4ELi0ELb0EEEviiP15ncclDevWorkColl
	.type	_ZN12_GLOBAL__N_17runRingIa7FuncSumIaE7ProtoLLLi0ELi4ELi0ELb0EEEviiP15ncclDevWorkColl,@function
_ZN12_GLOBAL__N_17runRingIa7FuncSumIaE7ProtoLLLi0ELi4ELi0ELb0EEEviiP15ncclDevWorkColl: ; @_ZN12_GLOBAL__N_17runRingIa7FuncSumIaE7ProtoLLLi0ELi4ELi0ELb0EEEviiP15ncclDevWorkColl
; %bb.0:
	s_waitcnt vmcnt(0) expcnt(0) lgkmcnt(0)
	s_or_saveexec_b64 s[4:5], -1
	buffer_store_dword v63, off, s[0:3], s32 offset:84 ; 4-byte Folded Spill
	s_mov_b64 exec, s[4:5]
	buffer_store_dword v40, off, s[0:3], s32 offset:80 ; 4-byte Folded Spill
	buffer_store_dword v41, off, s[0:3], s32 offset:76 ; 4-byte Folded Spill
	;; [unrolled: 1-line block ×20, first 2 shown]
	buffer_store_dword a37, off, s[0:3], s32 ; 4-byte Folded Spill
	v_writelane_b32 v63, s34, 0
	v_writelane_b32 v63, s35, 1
	v_writelane_b32 v63, s36, 2
	v_writelane_b32 v63, s37, 3
	v_writelane_b32 v63, s38, 4
	v_writelane_b32 v63, s39, 5
	v_writelane_b32 v63, s40, 6
	v_writelane_b32 v63, s41, 7
	v_writelane_b32 v63, s42, 8
	v_writelane_b32 v63, s43, 9
	v_writelane_b32 v63, s44, 10
	v_writelane_b32 v63, s45, 11
	v_writelane_b32 v63, s46, 12
	v_writelane_b32 v63, s47, 13
	v_writelane_b32 v63, s48, 14
	v_writelane_b32 v63, s49, 15
	v_writelane_b32 v63, s50, 16
	v_writelane_b32 v63, s51, 17
	v_writelane_b32 v63, s52, 18
	v_writelane_b32 v63, s53, 19
	v_writelane_b32 v63, s54, 20
	v_writelane_b32 v63, s55, 21
	v_writelane_b32 v63, s56, 22
	v_writelane_b32 v63, s30, 23
	v_writelane_b32 v63, s31, 24
	v_mov_b32_e32 v11, v31
	s_trap 2
	flat_load_dword v7, v[2:3]
	flat_load_dwordx4 v[28:31], v[2:3] offset:72
	flat_load_dwordx2 v[12:13], v[2:3] offset:88
	ds_read_b32 v5, v0
	ds_read_b64 v[22:23], v0
	v_mov_b32_e32 v26, v0
	v_mov_b32_e32 v20, v1
                                        ; implicit-def: $agpr4_agpr5
	s_waitcnt lgkmcnt(0)
	v_readfirstlane_b32 s52, v5
	s_waitcnt vmcnt(0)
	v_not_b32_sdwa v6, v7 dst_sel:DWORD dst_unused:UNUSED_PAD src0_sel:BYTE_0
	v_add_u32_sdwa v0, v7, v6 dst_sel:DWORD dst_unused:UNUSED_PAD src0_sel:BYTE_1 src1_sel:DWORD
	v_ashrrev_i32_e32 v1, 31, v0
	v_mul_lo_u32 v4, v31, v0
	v_mad_u64_u32 v[14:15], s[4:5], v30, v0, 0
	v_mul_lo_u32 v0, v30, v1
	v_add3_u32 v4, v15, v0, v4
	v_cmp_ne_u32_sdwa s[4:5], v7, v5 src0_sel:BYTE_0 src1_sel:DWORD
                                        ; implicit-def: $vgpr0_vgpr1
	s_and_saveexec_b64 s[6:7], s[4:5]
	s_xor_b64 s[4:5], exec, s[6:7]
	s_cbranch_execz .LBB14_6
; %bb.1:
	v_cmp_ne_u32_sdwa s[6:7], v7, v5 src0_sel:BYTE_1 src1_sel:DWORD
                                        ; implicit-def: $vgpr0_vgpr1
                                        ; implicit-def: $agpr4_agpr5
	s_and_saveexec_b64 s[10:11], s[6:7]
	s_xor_b64 s[6:7], exec, s[10:11]
	s_cbranch_execz .LBB14_3
; %bb.2:
	flat_load_dwordx2 v[0:1], v[2:3] offset:96
	v_add_u32_e32 v5, v5, v6
	v_ashrrev_i32_e32 v6, 31, v5
	v_mul_lo_u32 v6, v30, v6
	v_mul_lo_u32 v7, v31, v5
	v_mad_u64_u32 v[8:9], s[10:11], v30, v5, v[28:29]
	v_add3_u32 v9, v7, v9, v6
	v_accvgpr_write_b32 a4, v8
	v_accvgpr_write_b32 a5, v9
	s_waitcnt vmcnt(0) lgkmcnt(0)
	v_lshrrev_b64 v[0:1], 21, v[0:1]
.LBB14_3:
	s_andn2_saveexec_b64 s[6:7], s[6:7]
	s_cbranch_execz .LBB14_5
; %bb.4:
	flat_load_dword v0, v[2:3] offset:100
	v_add_co_u32_e32 v6, vcc, v14, v28
	v_addc_co_u32_e32 v7, vcc, v4, v29, vcc
	v_accvgpr_write_b32 a4, v6
	v_accvgpr_write_b32 a5, v7
	v_pk_mov_b32 v[30:31], v[12:13], v[12:13] op_sel:[0,1]
	s_waitcnt vmcnt(0) lgkmcnt(0)
	v_lshrrev_b32_e32 v0, 10, v0
.LBB14_5:
	s_or_b64 exec, exec, s[6:7]
.LBB14_6:
	s_andn2_saveexec_b64 s[4:5], s[4:5]
	s_cbranch_execz .LBB14_8
; %bb.7:
	flat_load_dwordx2 v[0:1], v[2:3] offset:96
	v_pk_mov_b32 v[6:7], 0, 0
	v_accvgpr_write_b32 a4, v6
	v_accvgpr_write_b32 a5, v7
	v_pk_mov_b32 v[30:31], v[28:29], v[28:29] op_sel:[0,1]
.LBB14_8:
	s_or_b64 exec, exec, s[4:5]
	flat_load_dwordx4 v[42:45], v[2:3] offset:16
	s_waitcnt vmcnt(0) lgkmcnt(0)
	v_add_co_u32_e32 v1, vcc, v12, v28
	v_addc_co_u32_e32 v5, vcc, v13, v29, vcc
	v_add_co_u32_e32 v62, vcc, v1, v14
	v_addc_co_u32_e32 v1, vcc, v5, v4, vcc
	v_accvgpr_write_b32 a1, v1
	v_cmp_ge_i32_e32 vcc, v26, v20
	s_and_saveexec_b64 s[4:5], vcc
	s_xor_b64 s[4:5], exec, s[4:5]
	s_cbranch_execz .LBB14_41
; %bb.9:
	flat_load_dword v0, v[22:23]
	v_accvgpr_read_b32 v1, a1
	s_waitcnt vmcnt(0) lgkmcnt(0)
	v_ashrrev_i32_e32 v2, 31, v0
	v_mul_lo_u32 v1, v1, v0
	v_mul_lo_u32 v2, v62, v2
	v_mad_u64_u32 v[4:5], s[6:7], v62, v0, v[42:43]
	v_add3_u32 v5, v1, v5, v2
	v_cmp_ne_u64_e32 vcc, v[44:45], v[4:5]
	s_and_saveexec_b64 s[6:7], vcc
	s_cbranch_execz .LBB14_40
; %bb.10:
	v_mad_u64_u32 v[4:5], s[10:11], v62, v0, 0
	v_add3_u32 v0, v5, v2, v1
	v_accvgpr_read_b32 v2, a4
	v_accvgpr_read_b32 v3, a5
	v_add_co_u32_e32 v14, vcc, v44, v2
	v_addc_co_u32_e32 v15, vcc, v45, v3, vcc
	v_add_co_u32_e32 v1, vcc, v42, v2
	v_addc_co_u32_e32 v2, vcc, v43, v3, vcc
	v_add_co_u32_e32 v16, vcc, v1, v4
	v_sub_u32_e32 v1, v26, v20
	v_addc_co_u32_e32 v17, vcc, v2, v0, vcc
	v_ashrrev_i32_e32 v0, 31, v1
	v_lshrrev_b32_e32 v0, 26, v0
	v_add_u32_e32 v0, v1, v0
	v_and_b32_e32 v2, 0xffffffc0, v0
	v_sub_u32_e32 v18, v1, v2
	v_cmp_gt_i32_e32 vcc, 1, v18
	v_mov_b32_e32 v1, 0
	s_and_saveexec_b64 s[10:11], vcc
; %bb.11:
	v_or_b32_e32 v1, v14, v16
	v_and_b32_e32 v1, 15, v1
	v_cmp_ne_u32_e32 vcc, 0, v1
	v_cndmask_b32_e64 v1, 0, 1, vcc
; %bb.12:
	s_or_b64 exec, exec, s[10:11]
	v_ashrrev_i32_e32 v19, 6, v0
	;;#ASMSTART
	;;#ASMEND
	v_cmp_ne_u32_e32 vcc, 0, v1
	s_cbranch_vccz .LBB14_14
; %bb.13:
	s_mov_b64 s[18:19], -1
	s_mov_b64 s[14:15], 0
	v_pk_mov_b32 v[4:5], 0, 0
	s_mov_b64 s[10:11], 0
                                        ; implicit-def: $vgpr2_vgpr3
                                        ; implicit-def: $vgpr0_vgpr1
	v_mov_b32_e32 v11, v18
	v_mov_b32_e32 v13, v19
	s_and_saveexec_b64 s[16:17], s[18:19]
	s_cbranch_execnz .LBB14_25
	s_branch .LBB14_34
.LBB14_14:
	v_ashrrev_i32_e32 v0, 31, v31
	v_lshrrev_b32_e32 v0, 20, v0
	v_add_co_u32_e32 v0, vcc, v30, v0
	v_addc_co_u32_e32 v1, vcc, 0, v31, vcc
	v_ashrrev_i64 v[6:7], 12, v[0:1]
	v_ashrrev_i32_e32 v0, 31, v19
	v_sub_co_u32_e32 v10, vcc, v6, v19
	v_subb_co_u32_e32 v11, vcc, v7, v0, vcc
	v_cmp_gt_i64_e32 vcc, 1, v[10:11]
	s_mov_b64 s[18:19], 0
	s_mov_b64 s[10:11], -1
	v_pk_mov_b32 v[4:5], 0, 0
	s_mov_b64 s[14:15], 0
                                        ; implicit-def: $vgpr2_vgpr3
                                        ; implicit-def: $vgpr0_vgpr1
                                        ; implicit-def: $vgpr11
                                        ; implicit-def: $vgpr13
	s_and_saveexec_b64 s[16:17], vcc
	s_cbranch_execz .LBB14_24
; %bb.15:
	v_lshlrev_b64 v[0:1], 12, v[6:7]
	v_cmp_ne_u64_e32 vcc, v[30:31], v[0:1]
	v_pk_mov_b32 v[4:5], 0, 0
                                        ; implicit-def: $vgpr2_vgpr3
                                        ; implicit-def: $vgpr11
                                        ; implicit-def: $vgpr13
	s_and_saveexec_b64 s[10:11], vcc
	s_cbranch_execz .LBB14_23
; %bb.16:
	v_sub_co_u32_e32 v4, vcc, v30, v0
	v_subb_co_u32_e32 v5, vcc, v31, v1, vcc
	v_ashrrev_i32_e32 v2, 31, v5
	v_lshrrev_b32_e32 v2, 22, v2
	v_add_co_u32_e32 v6, vcc, v4, v2
	v_addc_co_u32_e32 v7, vcc, 0, v5, vcc
	v_and_b32_e32 v2, 0xfffffc00, v6
	v_add_co_u32_e32 v8, vcc, v2, v0
	v_addc_co_u32_e32 v9, vcc, v7, v1, vcc
	v_ashrrev_i64 v[12:13], 10, v[6:7]
	v_sub_co_u32_e32 v6, vcc, v4, v2
	v_subb_co_u32_e32 v7, vcc, v5, v7, vcc
	v_mov_b32_e32 v3, 0
	v_cmp_lt_i64_e32 vcc, 15, v[6:7]
	s_and_saveexec_b64 s[14:15], vcc
; %bb.17:
	v_add_co_u32_e32 v12, vcc, 1, v12
	v_and_b32_e32 v2, 15, v30
	v_sub_co_u32_e32 v6, vcc, v6, v2
	v_subbrev_co_u32_e32 v7, vcc, 0, v7, vcc
	v_add_co_u32_e32 v8, vcc, v6, v8
	v_addc_co_u32_e32 v9, vcc, v7, v9, vcc
	v_pk_mov_b32 v[6:7], v[2:3], v[2:3] op_sel:[0,1]
; %bb.18:
	s_or_b64 exec, exec, s[14:15]
	v_lshlrev_b32_e32 v2, 6, v10
	v_sub_u32_e32 v2, v18, v2
	v_ashrrev_i32_e32 v3, 31, v2
	v_lshrrev_b32_e32 v3, 26, v3
	v_add_u32_e32 v3, v2, v3
	v_ashrrev_i32_e32 v10, 6, v3
	v_and_b32_e32 v3, 0xffffffc0, v3
	v_sub_u32_e32 v20, v2, v3
	v_lshlrev_b32_e32 v2, 4, v20
	v_lshl_add_u32 v2, v10, 10, v2
	v_ashrrev_i32_e32 v3, 31, v2
	v_sub_co_u32_e32 v4, vcc, v4, v2
	v_subb_co_u32_e32 v5, vcc, v5, v3, vcc
	v_cmp_gt_i64_e32 vcc, 16, v[4:5]
	s_mov_b64 s[20:21], -1
	v_pk_mov_b32 v[4:5], 0, 0
                                        ; implicit-def: $vgpr30_vgpr31
                                        ; implicit-def: $vgpr11
                                        ; implicit-def: $vgpr13
	s_and_saveexec_b64 s[14:15], vcc
	s_cbranch_execz .LBB14_22
; %bb.19:
	v_cmp_ne_u64_e32 vcc, 0, v[6:7]
	v_pk_mov_b32 v[4:5], 0, 0
                                        ; implicit-def: $vgpr11
                                        ; implicit-def: $vgpr13
	s_and_saveexec_b64 s[20:21], vcc
; %bb.20:
	v_sub_u32_e32 v4, v10, v12
	v_lshl_add_u32 v4, v4, 6, v20
	v_ashrrev_i32_e32 v5, 31, v4
	v_lshrrev_b32_e32 v5, 26, v5
	v_add_u32_e32 v5, v4, v5
	v_and_b32_e32 v10, 0xffffffc0, v5
	s_mov_b64 s[18:19], exec
	v_sub_u32_e32 v11, v4, v10
	v_ashrrev_i32_e32 v13, 6, v5
	v_pk_mov_b32 v[4:5], v[8:9], v[8:9] op_sel:[0,1]
; %bb.21:
	s_or_b64 exec, exec, s[20:21]
	s_xor_b64 s[20:21], exec, -1
	s_and_b64 s[18:19], s[18:19], exec
	v_pk_mov_b32 v[30:31], v[6:7], v[6:7] op_sel:[0,1]
.LBB14_22:
	s_or_b64 exec, exec, s[14:15]
	s_and_b64 s[14:15], s[20:21], exec
	s_and_b64 s[18:19], s[18:19], exec
.LBB14_23:
	s_or_b64 exec, exec, s[10:11]
	s_xor_b64 s[10:11], exec, -1
	s_and_b64 s[14:15], s[14:15], exec
	s_and_b64 s[18:19], s[18:19], exec
.LBB14_24:
	s_or_b64 exec, exec, s[16:17]
	s_and_saveexec_b64 s[16:17], s[18:19]
	s_cbranch_execz .LBB14_34
.LBB14_25:
	v_ashrrev_i32_e32 v6, 31, v31
	v_lshrrev_b32_e32 v6, 21, v6
	v_add_co_u32_e32 v6, vcc, v30, v6
	v_addc_co_u32_e32 v7, vcc, 0, v31, vcc
	v_ashrrev_i64 v[8:9], 11, v[6:7]
	v_ashrrev_i32_e32 v7, 31, v13
	v_sub_co_u32_e32 v6, vcc, v8, v13
	v_subb_co_u32_e32 v7, vcc, v9, v7, vcc
	v_cmp_gt_i64_e32 vcc, 1, v[6:7]
	s_and_saveexec_b64 s[18:19], vcc
	s_xor_b64 s[18:19], exec, s[18:19]
	s_cbranch_execz .LBB14_31
; %bb.26:
	v_lshlrev_b64 v[8:9], 11, v[8:9]
	v_cmp_ne_u64_e32 vcc, v[30:31], v[8:9]
	s_and_saveexec_b64 s[20:21], vcc
	s_cbranch_execz .LBB14_30
; %bb.27:
	v_lshlrev_b32_e32 v6, 6, v6
	v_sub_co_u32_e32 v12, vcc, v30, v8
	v_sub_u32_e32 v6, v11, v6
	v_subb_co_u32_e32 v13, vcc, v31, v9, vcc
	v_ashrrev_i32_e32 v7, 31, v6
	v_cmp_gt_i64_e32 vcc, v[12:13], v[6:7]
	s_and_b64 exec, exec, vcc
	s_cbranch_execz .LBB14_30
; %bb.28:
	v_add_co_u32_e32 v4, vcc, v8, v4
	v_addc_co_u32_e32 v5, vcc, v9, v5, vcc
	v_add_co_u32_e32 v6, vcc, v4, v6
	v_addc_co_u32_e32 v7, vcc, v5, v7, vcc
	;; [unrolled: 2-line block ×3, first 2 shown]
	flat_load_ubyte v8, v[4:5]
	v_add_co_u32_e32 v4, vcc, v6, v16
	v_addc_co_u32_e32 v5, vcc, v7, v17, vcc
	s_and_b64 vcc, exec, -1
	s_waitcnt vmcnt(0) lgkmcnt(0)
	flat_store_byte v[4:5], v8 glc slc
.LBB14_29:                              ; =>This Inner Loop Header: Depth=1
	s_mov_b64 vcc, vcc
	s_cbranch_vccnz .LBB14_29
.LBB14_30:
	s_or_b64 exec, exec, s[20:21]
                                        ; implicit-def: $vgpr13
                                        ; implicit-def: $vgpr11
                                        ; implicit-def: $vgpr4_vgpr5
.LBB14_31:
	s_andn2_saveexec_b64 s[18:19], s[18:19]
	s_cbranch_execz .LBB14_34
; %bb.32:
	v_lshl_add_u32 v6, v13, 11, v11
	v_ashrrev_i32_e32 v7, 31, v6
	v_add_co_u32_e32 v6, vcc, v4, v6
	v_addc_co_u32_e32 v7, vcc, v5, v7, vcc
	v_add_co_u32_e32 v4, vcc, v6, v16
	v_addc_co_u32_e32 v5, vcc, v7, v17, vcc
	;; [unrolled: 2-line block ×3, first 2 shown]
	s_and_b64 vcc, exec, 0
.LBB14_33:                              ; =>This Inner Loop Header: Depth=1
	flat_load_ubyte v8, v[6:7] glc slc
	flat_load_ubyte v9, v[6:7] offset:64 glc slc
	flat_load_ubyte v10, v[6:7] offset:128 glc slc
	;; [unrolled: 1-line block ×31, first 2 shown]
	s_waitcnt vmcnt(0) lgkmcnt(0)
	flat_store_byte v[4:5], v8 glc slc
	flat_store_byte v[4:5], v9 offset:64 glc slc
	flat_store_byte v[4:5], v10 offset:128 glc slc
	;; [unrolled: 1-line block ×31, first 2 shown]
	s_mov_b64 vcc, vcc
	s_cbranch_vccz .LBB14_33
.LBB14_34:
	s_or_b64 exec, exec, s[16:17]
	s_and_saveexec_b64 s[16:17], s[14:15]
	s_cbranch_execz .LBB14_37
; %bb.35:
	v_add_co_u32_e32 v2, vcc, v0, v2
	v_addc_co_u32_e32 v3, vcc, v1, v3, vcc
	v_add_co_u32_e32 v0, vcc, v2, v16
	v_addc_co_u32_e32 v1, vcc, v3, v17, vcc
	;; [unrolled: 2-line block ×3, first 2 shown]
	s_and_b64 vcc, exec, 0
.LBB14_36:                              ; =>This Inner Loop Header: Depth=1
	global_load_dwordx4 v[4:7], v[2:3], off glc slc
	s_waitcnt vmcnt(0)
	global_store_dwordx4 v[0:1], v[4:7], off glc slc
	s_mov_b64 vcc, vcc
	s_cbranch_vccz .LBB14_36
.LBB14_37:
	s_or_b64 exec, exec, s[16:17]
	s_and_saveexec_b64 s[14:15], s[10:11]
	s_xor_b64 s[14:15], exec, s[14:15]
	s_cbranch_execz .LBB14_40
; %bb.38:
	v_lshlrev_b32_e32 v0, 4, v18
	v_lshl_add_u32 v2, v19, 12, v0
	v_ashrrev_i32_e32 v3, 31, v2
	v_add_co_u32_e32 v0, vcc, v16, v2
	v_addc_co_u32_e32 v1, vcc, v17, v3, vcc
	v_add_co_u32_e32 v2, vcc, v14, v2
	v_addc_co_u32_e32 v3, vcc, v15, v3, vcc
	s_and_b64 vcc, exec, 0
.LBB14_39:                              ; =>This Inner Loop Header: Depth=1
	global_load_dwordx4 v[4:7], v[2:3], off glc slc
	global_load_dwordx4 v[8:11], v[2:3], off offset:1024 glc slc
	global_load_dwordx4 v[12:15], v[2:3], off offset:2048 glc slc
	;; [unrolled: 1-line block ×3, first 2 shown]
	s_waitcnt vmcnt(0)
	global_store_dwordx4 v[0:1], v[4:7], off glc slc
	global_store_dwordx4 v[0:1], v[8:11], off offset:1024 glc slc
	global_store_dwordx4 v[0:1], v[12:15], off offset:2048 glc slc
	;; [unrolled: 1-line block ×3, first 2 shown]
	s_mov_b64 vcc, vcc
	s_cbranch_vccz .LBB14_39
.LBB14_40:
	s_or_b64 exec, exec, s[6:7]
                                        ; implicit-def: $vgpr30_vgpr31
                                        ; implicit-def: $agpr4_agpr5
                                        ; implicit-def: $vgpr0_vgpr1
                                        ; implicit-def: $vgpr26
                                        ; implicit-def: $vgpr20
                                        ; implicit-def: $vgpr22_vgpr23
                                        ; implicit-def: $vgpr11
                                        ; implicit-def: $vgpr44_vgpr45
                                        ; implicit-def: $vgpr2_vgpr3
                                        ; implicit-def: $vgpr62
                                        ; implicit-def: $agpr1
.LBB14_41:
	s_andn2_saveexec_b64 s[20:21], s[4:5]
	s_cbranch_execz .LBB14_349
; %bb.42:
	flat_load_ushort v5, v[2:3] offset:8
	flat_load_dword v4, v[2:3] offset:4
	s_load_dword s4, s[8:9], 0x0
	v_mov_b32_e32 v13, 0
	v_ashrrev_i32_e32 v27, 31, v26
	v_lshrrev_b32_e32 v1, 26, v27
	v_add_u32_e32 v1, v26, v1
	s_waitcnt lgkmcnt(0)
	s_cmp_lt_u32 s12, s4
	s_cselect_b32 s4, 12, 18
	s_add_u32 s4, s8, s4
	s_addc_u32 s5, s9, 0
	global_load_ushort v14, v13, s[4:5]
	s_trap 2
	ds_read_b32 v12, v0
	v_and_b32_e32 v1, 0xffffffc0, v1
	v_sub_u32_e32 v1, v26, v1
	s_mov_b32 s6, 0
	v_pk_mov_b32 v[8:9], 0, 0
	s_waitcnt lgkmcnt(0)
	v_cmp_gt_i32_e32 vcc, 0, v12
	s_and_b64 vcc, exec, vcc
	v_cmp_eq_u32_e64 s[4:5], 0, v1
	s_waitcnt vmcnt(0)
	v_lshrrev_b64 v[2:3], 31, v[4:5]
	v_and_b32_e32 v4, 3, v2
	s_cbranch_vccnz .LBB14_44
; %bb.43:
	s_trap 2
	ds_read_b64 v[2:3], v0
	v_lshlrev_b64 v[6:7], 3, v[12:13]
	v_and_b32_e32 v5, 0xffff, v4
	s_movk_i32 s6, 0xa8
	s_waitcnt lgkmcnt(0)
	v_add_co_u32_e32 v2, vcc, v2, v6
	v_addc_co_u32_e32 v3, vcc, v3, v7, vcc
	flat_load_dwordx2 v[2:3], v[2:3]
	s_waitcnt vmcnt(0) lgkmcnt(0)
	v_mad_u64_u32 v[2:3], s[6:7], v5, s6, v[2:3]
	flat_load_dwordx2 v[32:33], v[2:3] offset:504
	flat_load_dwordx2 v[34:35], v[2:3] offset:608
	v_add_co_u32_e32 v2, vcc, 0x1f8, v2
	v_addc_co_u32_e32 v3, vcc, 0, v3, vcc
	v_cndmask_b32_e64 v19, 0, v3, s[4:5]
	v_cndmask_b32_e64 v18, 0, v2, s[4:5]
	s_mov_b32 s6, 1
	s_branch .LBB14_45
.LBB14_44:
	v_pk_mov_b32 v[18:19], v[8:9], v[8:9] op_sel:[0,1]
                                        ; implicit-def: $vgpr34_vgpr35
                                        ; implicit-def: $vgpr32_vgpr33
.LBB14_45:
	s_trap 2
	ds_read_b32 v2, v0
	s_waitcnt lgkmcnt(0)
	v_cmp_gt_i32_e32 vcc, 0, v2
	s_cbranch_vccnz .LBB14_47
; %bb.46:
	s_trap 2
	ds_read_b64 v[6:7], v0
	v_mov_b32_e32 v3, 0
	v_lshlrev_b64 v[2:3], 3, v[2:3]
	v_and_b32_e32 v4, 0xffff, v4
	s_movk_i32 s4, 0xa8
	s_waitcnt lgkmcnt(0)
	v_add_co_u32_e32 v2, vcc, v6, v2
	v_addc_co_u32_e32 v3, vcc, v7, v3, vcc
	flat_load_dwordx2 v[2:3], v[2:3]
	v_cmp_eq_u32_e32 vcc, 0, v1
	s_waitcnt vmcnt(0) lgkmcnt(0)
	v_mad_u64_u32 v[2:3], s[4:5], v4, s4, v[2:3]
	flat_load_dwordx2 v[36:37], v[2:3]
	flat_load_dwordx2 v[16:17], v[2:3] offset:104
	v_cndmask_b32_e32 v9, 0, v3, vcc
	v_cndmask_b32_e32 v8, 0, v2, vcc
	s_branch .LBB14_48
.LBB14_47:
                                        ; implicit-def: $vgpr16_vgpr17
                                        ; implicit-def: $vgpr36_vgpr37
.LBB14_48:
	v_subrev_u32_e32 v2, 64, v20
	v_cmp_le_i32_e32 vcc, v2, v26
	v_pk_mov_b32 v[2:3], 0, 0
	v_cmp_gt_i32_e64 s[4:5], s6, v1
	v_accvgpr_write_b32 a17, v3
	s_and_b64 s[22:23], vcc, s[4:5]
	v_accvgpr_write_b32 a16, v2
                                        ; implicit-def: $vgpr38_vgpr39
	s_and_saveexec_b64 s[4:5], s[22:23]
	s_cbranch_execz .LBB14_50
; %bb.49:
	flat_load_dwordx2 a[16:17], v[18:19] offset:56
	flat_load_dwordx2 v[38:39], v[18:19] offset:104
.LBB14_50:
	s_or_b64 exec, exec, s[4:5]
	v_cmp_gt_i32_e64 s[4:5], s6, v26
	v_pk_mov_b32 v[50:51], v[2:3], v[2:3] op_sel:[0,1]
                                        ; implicit-def: $vgpr54_vgpr55
	s_and_saveexec_b64 s[6:7], s[4:5]
	s_cbranch_execz .LBB14_52
; %bb.51:
	flat_load_dwordx2 v[50:51], v[8:9] offset:56
	s_waitcnt vmcnt(0) lgkmcnt(0)
	flat_load_dwordx2 v[54:55], v[50:51] glc
	s_waitcnt vmcnt(0)
	flat_load_dwordx4 v[2:5], v[8:9] offset:96
.LBB14_52:
	s_or_b64 exec, exec, s[6:7]
	v_cmp_ne_u64_e32 vcc, 0, v[30:31]
	v_pk_mov_b32 v[52:53], 0, 0
	s_and_saveexec_b64 s[24:25], vcc
	s_cbranch_execz .LBB14_325
; %bb.53:
	v_ashrrev_i32_e32 v1, 31, v12
	v_lshrrev_b32_e32 v1, 29, v1
	v_add_u32_e32 v1, v12, v1
	v_accvgpr_write_b32 a13, v9
	v_ashrrev_i32_e32 v10, 7, v1
	v_lshlrev_b32_e32 v1, 4, v0
	v_accvgpr_write_b32 a12, v8
	v_and_b32_e32 v8, 0x1fffff0, v1
	v_cvt_f64_u32_e32 v[6:7], 0
	v_ldexp_f64 v[6:7], v[6:7], 32
	v_accvgpr_write_b32 a18, v8
	v_cvt_f64_u32_e32 v[8:9], v8
	v_and_b32_e32 v1, 63, v11
	v_ashrrev_i32_e32 v21, 31, v20
	v_add_f64 v[6:7], v[6:7], v[8:9]
	v_cmp_eq_u32_e64 s[12:13], 0, v1
	v_lshrrev_b32_e32 v1, 26, v21
	v_accvgpr_write_b32 a21, v7
	v_add_u32_e32 v1, v20, v1
	v_accvgpr_write_b32 a20, v6
	v_ashrrev_i32_e32 v6, 6, v1
	v_ashrrev_i32_e32 v1, 31, v6
	v_lshlrev_b32_e32 v46, 3, v26
	v_accvgpr_write_b32 a22, v6
	v_accvgpr_write_b32 a11, v1
	v_ashrrev_i32_e32 v1, 31, v46
	v_add_co_u32_e32 v6, vcc, v42, v46
	v_accvgpr_write_b32 a23, v6
	v_addc_co_u32_e32 v6, vcc, v43, v1, vcc
	v_accvgpr_write_b32 a25, v6
	s_waitcnt vmcnt(0) lgkmcnt(0)
	v_accvgpr_read_b32 v6, a16
	v_accvgpr_read_b32 v7, a17
	v_cmp_ne_u64_e64 s[14:15], 0, v[6:7]
	v_add_co_u32_e32 v47, vcc, v44, v46
	v_accvgpr_read_b32 v7, a5
	v_accvgpr_write_b32 a19, v1
	v_addc_co_u32_e32 v1, vcc, v45, v1, vcc
	v_accvgpr_read_b32 v6, a4
	v_and_b32_e32 v0, 0x1fffff, v0
	v_add_co_u32_e32 v58, vcc, v47, v6
	v_lshlrev_b32_e32 v0, 7, v0
	v_accvgpr_write_b32 a27, v1
	v_addc_co_u32_e32 v59, vcc, v1, v7, vcc
	v_lshlrev_b32_e32 v1, 3, v58
	v_accvgpr_write_b32 a29, v0
	v_lshlrev_b32_e32 v0, 6, v20
	v_accvgpr_write_b32 a28, v1
	v_accvgpr_write_b32 a30, v0
	v_lshlrev_b64 v[0:1], 4, v[26:27]
	v_add_co_u32_e32 v0, vcc, v36, v0
	v_accvgpr_write_b32 a14, v18
	v_lshlrev_b32_e32 v56, 3, v20
	s_cmp_lt_i32 s52, 3
	v_accvgpr_write_b32 a6, v42
	v_accvgpr_write_b32 a31, v0
	v_addc_co_u32_e32 v0, vcc, v37, v1, vcc
	v_pk_mov_b32 v[28:29], 0, 0
	v_accvgpr_mov_b32 a35, a5
	v_accvgpr_write_b32 a15, v19
	v_mov_b32_e32 v41, 0
	s_mov_b64 s[26:27], 0
	v_cmp_ne_u64_e64 s[6:7], 0, v[50:51]
	v_cmp_ne_u64_e64 s[8:9], 0, v[2:3]
	v_cmp_ne_u32_e64 s[10:11], 64, v20
	v_accvgpr_write_b32 a10, v14
	v_cmp_ne_u32_sdwa s[28:29], v14, v20 src0_sel:WORD_0 src1_sel:DWORD
	v_accvgpr_write_b32 a0, v11
	v_ashrrev_i32_e32 v57, 31, v56
	s_cselect_b64 s[30:31], -1, 0
	s_add_i32 s53, s52, -2
	v_accvgpr_write_b32 a7, v43
	v_accvgpr_write_b32 a8, v44
	;; [unrolled: 1-line block ×4, first 2 shown]
	v_lshlrev_b64 v[60:61], 4, v[20:21]
	s_movk_i32 s54, 0x2710
	s_mov_b64 s[34:35], 0x7ffffff8
	v_accvgpr_mov_b32 a34, a4
	v_mov_b32_e32 v27, 0
	v_pk_mov_b32 v[52:53], v[28:29], v[28:29] op_sel:[0,1]
	s_branch .LBB14_55
.LBB14_54:                              ;   in Loop: Header=BB14_55 Depth=1
	s_or_b64 exec, exec, s[16:17]
	v_add_co_u32_e32 v34, vcc, 1, v34
	v_addc_co_u32_e32 v35, vcc, 0, v35, vcc
	v_accvgpr_read_b32 v0, a18
	v_add_co_u32_e32 v28, vcc, v28, v0
	v_addc_co_u32_e32 v29, vcc, 0, v29, vcc
	v_accvgpr_read_b32 v6, a34
	v_accvgpr_read_b32 v7, a35
	v_add_co_u32_e32 v6, vcc, v6, v0
	v_addc_co_u32_e32 v7, vcc, 0, v7, vcc
	v_accvgpr_read_b32 v31, a3
	v_accvgpr_write_b32 a35, v7
	v_accvgpr_read_b32 v30, a2
	v_accvgpr_write_b32 a34, v6
	v_accvgpr_read_b32 v1, a28
	v_accvgpr_read_b32 v6, a29
	v_cmp_ge_u64_e32 vcc, v[28:29], v[30:31]
	v_add_u32_e32 v1, v1, v6
	s_or_b64 s[26:27], vcc, s[26:27]
	v_add_co_u32_e32 v58, vcc, v58, v0
	v_accvgpr_write_b32 a28, v1
	v_addc_co_u32_e32 v59, vcc, 0, v59, vcc
	s_andn2_b64 exec, exec, s[26:27]
	s_cbranch_execz .LBB14_324
.LBB14_55:                              ; =>This Loop Header: Depth=1
                                        ;     Child Loop BB14_63 Depth 2
                                        ;     Child Loop BB14_80 Depth 2
                                        ;     Child Loop BB14_94 Depth 2
                                        ;     Child Loop BB14_119 Depth 2
                                        ;     Child Loop BB14_129 Depth 2
                                        ;     Child Loop BB14_146 Depth 2
                                        ;     Child Loop BB14_160 Depth 2
                                        ;     Child Loop BB14_167 Depth 2
                                        ;     Child Loop BB14_173 Depth 2
                                        ;       Child Loop BB14_190 Depth 3
                                        ;       Child Loop BB14_206 Depth 3
	;; [unrolled: 1-line block ×3, first 2 shown]
                                        ;         Child Loop BB14_223 Depth 4
                                        ;       Child Loop BB14_257 Depth 3
                                        ;       Child Loop BB14_181 Depth 3
                                        ;     Child Loop BB14_274 Depth 2
                                        ;       Child Loop BB14_278 Depth 3
                                        ;     Child Loop BB14_312 Depth 2
	flat_load_dword v6, v[22:23]
	v_sub_co_u32_e32 v7, vcc, v30, v28
	v_accvgpr_read_b32 v13, a5
	v_subb_co_u32_e32 v8, vcc, v31, v29, vcc
	v_accvgpr_read_b32 v12, a4
	v_accvgpr_read_b32 v0, a20
	v_add_co_u32_e32 v18, vcc, v28, v12
	v_cvt_f64_u32_e32 v[8:9], v8
	v_accvgpr_read_b32 v1, a21
	v_addc_co_u32_e32 v19, vcc, v29, v13, vcc
	v_cvt_f64_u32_e32 v[12:13], v7
	v_ldexp_f64 v[8:9], v[8:9], 32
	v_max_f64 v[0:1], v[0:1], v[0:1]
	v_add_f64 v[8:9], v[8:9], v[12:13]
	v_min_f64 v[0:1], v[0:1], v[8:9]
	v_cvt_i32_f64_e32 v0, v[0:1]
	v_max_i32_e32 v24, 0, v0
	v_add_u32_e32 v0, 7, v24
	v_accvgpr_read_b32 v45, a9
	v_ashrrev_i32_e32 v1, 31, v0
	v_accvgpr_read_b32 v44, a8
	v_lshrrev_b32_e32 v1, 29, v1
	v_add_co_u32_e32 v14, vcc, v44, v18
	v_add_u32_e32 v9, v0, v1
	v_accvgpr_read_b32 v0, a1
	v_accvgpr_read_b32 v42, a6
	v_addc_co_u32_e32 v15, vcc, v45, v19, vcc
	v_accvgpr_read_b32 v43, a7
	v_accvgpr_write_b32 a2, v30
	v_accvgpr_write_b32 a37, v19
	;; [unrolled: 1-line block ×4, first 2 shown]
	s_waitcnt vmcnt(0) lgkmcnt(0)
	v_ashrrev_i32_e32 v8, 31, v6
	v_mul_lo_u32 v7, v0, v6
	v_mad_u64_u32 v[0:1], s[16:17], v62, v6, v[18:19]
	v_mul_lo_u32 v8, v62, v8
	v_add3_u32 v1, v7, v1, v8
	v_add_co_u32_e32 v0, vcc, v42, v0
	v_addc_co_u32_e32 v1, vcc, v43, v1, vcc
	v_cmp_ne_u64_e32 vcc, v[14:15], v[0:1]
	v_ashrrev_i32_e32 v0, 3, v9
	v_accvgpr_write_b32 a33, v0
	s_and_saveexec_b64 s[16:17], vcc
	s_xor_b64 s[18:19], exec, s[16:17]
	s_cbranch_execz .LBB14_121
; %bb.56:                               ;   in Loop: Header=BB14_55 Depth=1
	s_and_saveexec_b64 s[16:17], s[6:7]
	s_cbranch_execz .LBB14_72
; %bb.57:                               ;   in Loop: Header=BB14_55 Depth=1
	v_add_co_u32_e32 v0, vcc, 1, v4
	v_addc_co_u32_e32 v1, vcc, 0, v5, vcc
	v_add_co_u32_e32 v12, vcc, 8, v54
	v_addc_co_u32_e32 v13, vcc, 0, v55, vcc
	v_cmp_lt_u64_e32 vcc, v[12:13], v[0:1]
	s_and_saveexec_b64 s[36:37], vcc
	s_cbranch_execz .LBB14_69
; %bb.58:                               ;   in Loop: Header=BB14_55 Depth=1
	s_sleep 1
	flat_load_dwordx2 v[54:55], v[50:51] glc
	v_cmp_eq_u32_e32 vcc, 0, v27
	s_and_saveexec_b64 s[38:39], vcc
	s_cbranch_execz .LBB14_68
; %bb.59:                               ;   in Loop: Header=BB14_55 Depth=1
	v_cndmask_b32_e64 v5, 0, 1, vcc
	s_mov_b64 s[40:41], 0
                                        ; implicit-def: $sgpr42_sgpr43
	s_branch .LBB14_63
.LBB14_60:                              ;   in Loop: Header=BB14_63 Depth=2
	s_or_b64 exec, exec, s[50:51]
	s_orn2_b64 s[48:49], s[48:49], exec
.LBB14_61:                              ;   in Loop: Header=BB14_63 Depth=2
	s_or_b64 exec, exec, s[46:47]
	s_xor_b64 vcc, s[48:49], -1
	s_andn2_b64 s[42:43], s[42:43], exec
	s_and_b64 vcc, vcc, exec
	s_or_b64 s[42:43], s[42:43], vcc
.LBB14_62:                              ;   in Loop: Header=BB14_63 Depth=2
	s_or_b64 exec, exec, s[44:45]
	s_and_b64 vcc, exec, s[42:43]
	s_or_b64 s[40:41], vcc, s[40:41]
	s_andn2_b64 exec, exec, s[40:41]
	s_cbranch_execz .LBB14_67
.LBB14_63:                              ;   Parent Loop BB14_55 Depth=1
                                        ; =>  This Inner Loop Header: Depth=2
	s_waitcnt vmcnt(0) lgkmcnt(0)
	v_add_co_u32_e32 v12, vcc, 8, v54
	v_addc_co_u32_e32 v13, vcc, 0, v55, vcc
	v_cmp_lt_u64_e32 vcc, v[12:13], v[0:1]
	v_mov_b32_e32 v27, 0
	s_or_b64 s[42:43], s[42:43], exec
	s_and_saveexec_b64 s[44:45], vcc
	s_cbranch_execz .LBB14_62
; %bb.64:                               ;   in Loop: Header=BB14_63 Depth=2
	s_sleep 1
	flat_load_dwordx2 v[54:55], v[50:51] glc
	v_add_u32_e32 v5, 1, v5
	v_cmp_eq_u32_e32 vcc, s54, v5
	s_mov_b64 s[48:49], -1
	v_mov_b32_e32 v27, 0
	s_and_saveexec_b64 s[46:47], vcc
	s_cbranch_execz .LBB14_61
; %bb.65:                               ;   in Loop: Header=BB14_63 Depth=2
	s_trap 2
	ds_read_b64 v[12:13], v0
	v_mov_b32_e32 v5, 0
	v_mov_b32_e32 v27, 0
	s_waitcnt vmcnt(0) lgkmcnt(0)
	flat_load_dword v9, v[12:13] glc
	s_waitcnt vmcnt(0) lgkmcnt(0)
	buffer_invl2
	buffer_wbinvl1_vol
	v_cmp_ne_u32_e32 vcc, 0, v9
	s_and_saveexec_b64 s[50:51], vcc
	s_cbranch_execz .LBB14_60
; %bb.66:                               ;   in Loop: Header=BB14_63 Depth=2
	v_mov_b32_e32 v27, 1
	s_xor_b64 s[48:49], exec, -1
	ds_write_b32 v0, v9
	s_trap 2
	s_branch .LBB14_60
.LBB14_67:                              ;   in Loop: Header=BB14_55 Depth=1
	s_or_b64 exec, exec, s[40:41]
.LBB14_68:                              ;   in Loop: Header=BB14_55 Depth=1
	s_or_b64 exec, exec, s[38:39]
.LBB14_69:                              ;   in Loop: Header=BB14_55 Depth=1
	s_or_b64 exec, exec, s[36:37]
	s_and_saveexec_b64 s[36:37], s[8:9]
	s_cbranch_execz .LBB14_71
; %bb.70:                               ;   in Loop: Header=BB14_55 Depth=1
	v_and_b32_e32 v40, 0x7ffffff8, v4
	v_cmp_eq_u64_e32 vcc, s[34:35], v[40:41]
	v_accvgpr_read_b32 v5, a33
	v_cndmask_b32_e32 v5, v5, v10, vcc
	v_lshlrev_b32_e32 v12, 4, v5
	v_and_b32_e32 v4, 7, v4
	v_ashrrev_i32_e32 v13, 31, v12
	v_mad_u64_u32 v[4:5], vcc, v4, 24, v[2:3]
	flat_store_dwordx2 v[4:5], v[12:13] offset:8
	s_waitcnt vmcnt(0)
.LBB14_71:                              ;   in Loop: Header=BB14_55 Depth=1
	s_or_b64 exec, exec, s[36:37]
	v_pk_mov_b32 v[4:5], v[0:1], v[0:1] op_sel:[0,1]
.LBB14_72:                              ;   in Loop: Header=BB14_55 Depth=1
	s_or_b64 exec, exec, s[16:17]
	v_mad_u64_u32 v[12:13], s[16:17], v62, v6, 0
	v_add3_u32 v6, v13, v8, v7
	s_and_saveexec_b64 s[16:17], s[10:11]
	s_cbranch_execz .LBB14_91
; %bb.73:                               ;   in Loop: Header=BB14_55 Depth=1
	s_and_saveexec_b64 vcc, s[28:29]
	s_xor_b64 s[36:37], exec, vcc
	s_cbranch_execz .LBB14_88
; %bb.74:                               ;   in Loop: Header=BB14_55 Depth=1
	s_and_saveexec_b64 s[38:39], s[12:13]
	s_cbranch_execz .LBB14_87
; %bb.75:                               ;   in Loop: Header=BB14_55 Depth=1
	s_mov_b64 s[42:43], exec
	v_mbcnt_lo_u32_b32 v0, s42, 0
	v_mbcnt_hi_u32_b32 v0, s43, v0
	v_cmp_eq_u32_e32 vcc, 0, v0
	s_waitcnt vmcnt(0) lgkmcnt(0)
	buffer_wbinvl1_vol
	s_and_saveexec_b64 s[40:41], vcc
	s_cbranch_execz .LBB14_77
; %bb.76:                               ;   in Loop: Header=BB14_55 Depth=1
	s_bcnt1_i32_b64 vcc_lo, s[42:43]
	v_mov_b32_e32 v40, vcc_lo
	ds_add_u64 v0, v[40:41]
	s_trap 2
.LBB14_77:                              ;   in Loop: Header=BB14_55 Depth=1
	s_or_b64 exec, exec, s[40:41]
	s_trap 2
	ds_read_b64 v[0:1], v0
	v_accvgpr_read_b32 v8, a22
	v_add_co_u32_e32 v52, vcc, v52, v8
	v_accvgpr_read_b32 v7, a11
	v_addc_co_u32_e32 v53, vcc, v53, v7, vcc
	s_waitcnt lgkmcnt(0)
	v_cmp_lt_u64_e32 vcc, v[0:1], v[52:53]
	s_and_saveexec_b64 s[40:41], vcc
	s_cbranch_execz .LBB14_86
; %bb.78:                               ;   in Loop: Header=BB14_55 Depth=1
	s_mov_b32 s55, 0
	s_mov_b64 s[42:43], 0
                                        ; implicit-def: $sgpr44_sgpr45
                                        ; implicit-def: $sgpr46_sgpr47
	s_branch .LBB14_80
.LBB14_79:                              ;   in Loop: Header=BB14_80 Depth=2
	s_or_b64 exec, exec, s[50:51]
	s_and_b64 vcc, exec, vcc
	s_or_b64 s[42:43], vcc, s[42:43]
	s_andn2_b64 vcc, s[44:45], exec
	s_and_b64 s[44:45], s[46:47], exec
	s_or_b64 s[44:45], vcc, s[44:45]
	s_andn2_b64 exec, exec, s[42:43]
	s_cbranch_execz .LBB14_84
.LBB14_80:                              ;   Parent Loop BB14_55 Depth=1
                                        ; =>  This Inner Loop Header: Depth=2
	s_add_i32 s55, s55, 1
	s_cmpk_lg_i32 s55, 0x2710
	s_cselect_b64 s[48:49], -1, 0
	s_and_b64 vcc, exec, s[48:49]
                                        ; implicit-def: $sgpr50_sgpr51
	s_cbranch_vccnz .LBB14_82
; %bb.81:                               ;   in Loop: Header=BB14_80 Depth=2
	s_trap 2
	ds_read_b64 v[0:1], v0
	s_andn2_b64 s[48:49], s[48:49], exec
	s_mov_b32 s55, 0
	s_mov_b64 s[50:51], -1
	s_waitcnt lgkmcnt(0)
	flat_load_dword v0, v[0:1] glc
	s_waitcnt vmcnt(0) lgkmcnt(0)
	buffer_invl2
	buffer_wbinvl1_vol
	v_cmp_eq_u32_e32 vcc, 0, v0
	s_and_b64 vcc, vcc, exec
	s_or_b64 s[48:49], s[48:49], vcc
.LBB14_82:                              ;   in Loop: Header=BB14_80 Depth=2
	s_andn2_b64 s[46:47], s[46:47], exec
	s_and_b64 s[50:51], s[50:51], exec
	s_mov_b64 vcc, -1
	s_or_b64 s[46:47], s[46:47], s[50:51]
	s_and_saveexec_b64 s[50:51], s[48:49]
	s_cbranch_execz .LBB14_79
; %bb.83:                               ;   in Loop: Header=BB14_80 Depth=2
	s_sleep 1
	s_trap 2
	ds_read_b64 v[0:1], v0
	s_andn2_b64 s[46:47], s[46:47], exec
	s_waitcnt lgkmcnt(0)
	v_cmp_ge_u64_e32 vcc, v[0:1], v[52:53]
	s_orn2_b64 vcc, vcc, exec
	s_branch .LBB14_79
.LBB14_84:                              ;   in Loop: Header=BB14_55 Depth=1
	s_or_b64 exec, exec, s[42:43]
	s_and_saveexec_b64 vcc, s[44:45]
	s_xor_b64 vcc, exec, vcc
	s_cbranch_execz .LBB14_86
; %bb.85:                               ;   in Loop: Header=BB14_55 Depth=1
	v_mov_b32_e32 v0, 1
	ds_write_b32 v0, v0
	s_trap 2
.LBB14_86:                              ;   in Loop: Header=BB14_55 Depth=1
	s_or_b64 exec, exec, s[40:41]
	;;#ASMSTART
	s_wakeup
	;;#ASMEND
.LBB14_87:                              ;   in Loop: Header=BB14_55 Depth=1
	s_or_b64 exec, exec, s[38:39]
.LBB14_88:                              ;   in Loop: Header=BB14_55 Depth=1
	s_andn2_saveexec_b64 vcc, s[36:37]
	s_cbranch_execz .LBB14_90
; %bb.89:                               ;   in Loop: Header=BB14_55 Depth=1
	s_waitcnt vmcnt(0) lgkmcnt(0)
	buffer_wbinvl1_vol
	s_barrier
.LBB14_90:                              ;   in Loop: Header=BB14_55 Depth=1
	s_or_b64 exec, exec, vcc
.LBB14_91:                              ;   in Loop: Header=BB14_55 Depth=1
	s_or_b64 exec, exec, s[16:17]
	v_sub_u32_e32 v1, v24, v46
	v_cmp_lt_i32_e32 vcc, 0, v1
	v_mov_b32_e32 v0, v26
	s_and_saveexec_b64 s[36:37], vcc
	s_cbranch_execz .LBB14_117
; %bb.92:                               ;   in Loop: Header=BB14_55 Depth=1
	v_and_b32_e32 v0, 7, v16
	v_mov_b32_e32 v7, v16
	v_add_co_u32_e64 v8, vcc, 0, 0
	v_mul_lo_u32 v14, v0, v10
	v_addc_co_u32_e32 v13, vcc, 1, v7, vcc
	v_accvgpr_read_b32 v0, a23
	v_ashrrev_i32_e32 v15, 31, v14
	v_add_co_u32_e32 v9, vcc, v0, v12
	v_accvgpr_read_b32 v0, a25
	v_addc_co_u32_e32 v11, vcc, v0, v6, vcc
	v_lshlrev_b64 v[6:7], 4, v[14:15]
	v_accvgpr_read_b32 v0, a31
	v_add_co_u32_e32 v18, vcc, v0, v6
	v_accvgpr_read_b32 v0, a32
	v_accvgpr_read_b32 v30, a34
	v_addc_co_u32_e32 v19, vcc, v0, v7, vcc
	s_mov_b64 s[38:39], 0
	v_accvgpr_read_b32 v21, a28
	v_accvgpr_read_b32 v31, a35
	v_mov_b32_e32 v0, v26
	s_branch .LBB14_94
.LBB14_93:                              ;   in Loop: Header=BB14_94 Depth=2
	v_add_co_u32_e32 v30, vcc, v30, v56
	v_sub_u32_e32 v1, v1, v56
	v_addc_co_u32_e32 v31, vcc, v31, v57, vcc
	v_cmp_gt_i32_e32 vcc, 1, v1
	v_accvgpr_read_b32 v6, a30
	s_or_b64 s[38:39], vcc, s[38:39]
	v_add_co_u32_e32 v18, vcc, v18, v60
	v_add_u32_e32 v0, v0, v20
	v_add_u32_e32 v21, v21, v6
	v_addc_co_u32_e32 v19, vcc, v19, v61, vcc
	s_andn2_b64 exec, exec, s[38:39]
	s_cbranch_execz .LBB14_116
.LBB14_94:                              ;   Parent Loop BB14_55 Depth=1
                                        ; =>  This Inner Loop Header: Depth=2
	v_add_co_u32_e32 v14, vcc, v47, v30
	v_accvgpr_read_b32 v6, a27
	v_addc_co_u32_e32 v7, vcc, v6, v31, vcc
	v_and_b32_e32 v6, -4, v14
	global_load_dword v12, v[6:7], off glc slc
	v_min_u32_e32 v15, 8, v1
	v_and_b32_e32 v14, 3, v14
	v_add_co_u32_e32 v14, vcc, v14, v15
	v_addc_co_u32_e64 v15, s[16:17], 0, 0, vcc
	v_mov_b32_e32 v48, 0
	v_cmp_lt_u64_e32 vcc, 4, v[14:15]
	v_mov_b32_e32 v49, 0
	s_and_saveexec_b64 s[16:17], vcc
	s_cbranch_execz .LBB14_96
; %bb.95:                               ;   in Loop: Header=BB14_94 Depth=2
	global_load_dword v49, v[6:7], off offset:4 glc slc
.LBB14_96:                              ;   in Loop: Header=BB14_94 Depth=2
	s_or_b64 exec, exec, s[16:17]
	v_cmp_lt_u64_e32 vcc, 8, v[14:15]
	s_and_saveexec_b64 s[16:17], vcc
	s_cbranch_execz .LBB14_98
; %bb.97:                               ;   in Loop: Header=BB14_94 Depth=2
	global_load_dword v48, v[6:7], off offset:8 glc slc
.LBB14_98:                              ;   in Loop: Header=BB14_94 Depth=2
	s_or_b64 exec, exec, s[16:17]
	v_add_co_u32_e32 v6, vcc, v9, v30
	v_addc_co_u32_e32 v7, vcc, v11, v31, vcc
	s_waitcnt vmcnt(0)
	v_alignbit_b32 v44, v49, v12, v21
	v_alignbit_b32 v45, v48, v49, v21
	v_or_b32_e32 v12, v8, v44
	v_or_b32_e32 v14, v8, v45
	v_mov_b32_e32 v15, v13
	v_cmp_lt_u32_e32 vcc, 7, v1
	global_store_dwordx4 v[18:19], v[12:15], off
	s_nop 0
	v_cndmask_b32_e64 v12, 0, 1, vcc
	;;#ASMSTART
	;;#ASMEND
	v_cmp_ne_u32_e64 s[16:17], 0, v12
	s_cmp_lg_u64 s[16:17], exec
	s_mov_b64 s[16:17], -1
	s_cbranch_scc0 .LBB14_108
; %bb.99:                               ;   in Loop: Header=BB14_94 Depth=2
	v_cmp_ne_u32_e64 s[16:17], 1, v1
	flat_store_byte v[6:7], v44
	s_and_saveexec_b64 s[40:41], s[16:17]
	s_cbranch_execnz .LBB14_110
; %bb.100:                              ;   in Loop: Header=BB14_94 Depth=2
	s_or_b64 exec, exec, s[40:41]
	v_cmp_lt_u32_e64 s[16:17], 2, v1
	s_and_saveexec_b64 s[40:41], s[16:17]
	s_cbranch_execnz .LBB14_111
.LBB14_101:                             ;   in Loop: Header=BB14_94 Depth=2
	s_or_b64 exec, exec, s[40:41]
	v_cmp_lt_u32_e64 s[16:17], 3, v1
	s_and_saveexec_b64 s[40:41], s[16:17]
	s_cbranch_execnz .LBB14_112
.LBB14_102:                             ;   in Loop: Header=BB14_94 Depth=2
	s_or_b64 exec, exec, s[40:41]
	v_cmp_lt_u32_e64 s[16:17], 4, v1
	s_and_saveexec_b64 s[40:41], s[16:17]
	s_cbranch_execnz .LBB14_113
.LBB14_103:                             ;   in Loop: Header=BB14_94 Depth=2
	s_or_b64 exec, exec, s[40:41]
	v_cmp_lt_u32_e64 s[16:17], 5, v1
	s_and_saveexec_b64 s[40:41], s[16:17]
	s_cbranch_execnz .LBB14_114
.LBB14_104:                             ;   in Loop: Header=BB14_94 Depth=2
	s_or_b64 exec, exec, s[40:41]
	v_cmp_lt_u32_e64 s[16:17], 6, v1
	s_and_saveexec_b64 s[40:41], s[16:17]
	s_cbranch_execnz .LBB14_115
.LBB14_105:                             ;   in Loop: Header=BB14_94 Depth=2
	s_or_b64 exec, exec, s[40:41]
	s_and_saveexec_b64 s[16:17], vcc
	s_cbranch_execz .LBB14_107
.LBB14_106:                             ;   in Loop: Header=BB14_94 Depth=2
	v_lshrrev_b32_e32 v12, 24, v45
	flat_store_byte v[6:7], v12 offset:7
.LBB14_107:                             ;   in Loop: Header=BB14_94 Depth=2
	s_or_b64 exec, exec, s[16:17]
	s_mov_b64 s[16:17], 0
.LBB14_108:                             ;   in Loop: Header=BB14_94 Depth=2
	s_and_b64 vcc, exec, s[16:17]
	s_cbranch_vccz .LBB14_93
; %bb.109:                              ;   in Loop: Header=BB14_94 Depth=2
	global_store_dwordx2 v[6:7], v[44:45], off
	s_branch .LBB14_93
.LBB14_110:                             ;   in Loop: Header=BB14_94 Depth=2
	v_lshrrev_b32_e32 v12, 8, v44
	flat_store_byte v[6:7], v12 offset:1
	s_or_b64 exec, exec, s[40:41]
	v_cmp_lt_u32_e64 s[16:17], 2, v1
	s_and_saveexec_b64 s[40:41], s[16:17]
	s_cbranch_execz .LBB14_101
.LBB14_111:                             ;   in Loop: Header=BB14_94 Depth=2
	flat_store_byte_d16_hi v[6:7], v44 offset:2
	s_or_b64 exec, exec, s[40:41]
	v_cmp_lt_u32_e64 s[16:17], 3, v1
	s_and_saveexec_b64 s[40:41], s[16:17]
	s_cbranch_execz .LBB14_102
.LBB14_112:                             ;   in Loop: Header=BB14_94 Depth=2
	v_lshrrev_b32_e32 v12, 24, v44
	flat_store_byte v[6:7], v12 offset:3
	s_or_b64 exec, exec, s[40:41]
	v_cmp_lt_u32_e64 s[16:17], 4, v1
	s_and_saveexec_b64 s[40:41], s[16:17]
	s_cbranch_execz .LBB14_103
.LBB14_113:                             ;   in Loop: Header=BB14_94 Depth=2
	flat_store_byte v[6:7], v45 offset:4
	s_or_b64 exec, exec, s[40:41]
	v_cmp_lt_u32_e64 s[16:17], 5, v1
	s_and_saveexec_b64 s[40:41], s[16:17]
	s_cbranch_execz .LBB14_104
.LBB14_114:                             ;   in Loop: Header=BB14_94 Depth=2
	v_lshrrev_b32_e32 v12, 8, v45
	flat_store_byte v[6:7], v12 offset:5
	s_or_b64 exec, exec, s[40:41]
	v_cmp_lt_u32_e64 s[16:17], 6, v1
	s_and_saveexec_b64 s[40:41], s[16:17]
	s_cbranch_execz .LBB14_105
.LBB14_115:                             ;   in Loop: Header=BB14_94 Depth=2
	flat_store_byte_d16_hi v[6:7], v45 offset:6
	s_or_b64 exec, exec, s[40:41]
	s_and_saveexec_b64 s[16:17], vcc
	s_cbranch_execnz .LBB14_106
	s_branch .LBB14_107
.LBB14_116:                             ;   in Loop: Header=BB14_55 Depth=1
	s_or_b64 exec, exec, s[38:39]
.LBB14_117:                             ;   in Loop: Header=BB14_55 Depth=1
	s_or_b64 exec, exec, s[36:37]
	v_and_b32_e32 v40, 0x7ffffff8, v16
	v_cmp_eq_u64_e32 vcc, s[34:35], v[40:41]
	v_cmp_gt_i32_e64 s[16:17], v10, v0
	s_and_b64 s[16:17], vcc, s[16:17]
	s_and_saveexec_b64 s[36:37], s[16:17]
	s_cbranch_execz .LBB14_120
; %bb.118:                              ;   in Loop: Header=BB14_55 Depth=1
	v_and_b32_e32 v1, 7, v16
	v_mul_lo_u32 v6, v1, v10
	v_mov_b32_e32 v1, v16
	v_add_co_u32_e64 v12, vcc, 0, 0
	v_ashrrev_i32_e32 v7, 31, v6
	v_addc_co_u32_e32 v13, vcc, 1, v1, vcc
	v_ashrrev_i32_e32 v1, 31, v0
	v_lshlrev_b64 v[8:9], 4, v[0:1]
	v_lshlrev_b64 v[6:7], 4, v[6:7]
	v_add_co_u32_e32 v1, vcc, v8, v6
	v_addc_co_u32_e32 v7, vcc, v9, v7, vcc
	v_add_co_u32_e32 v6, vcc, v36, v1
	v_addc_co_u32_e32 v7, vcc, v37, v7, vcc
	s_mov_b64 s[38:39], 0
.LBB14_119:                             ;   Parent Loop BB14_55 Depth=1
                                        ; =>  This Inner Loop Header: Depth=2
	v_mov_b32_e32 v14, v12
	v_mov_b32_e32 v15, v13
	v_add_u32_e32 v0, v0, v20
	global_store_dwordx4 v[6:7], v[12:15], off
	v_cmp_ge_i32_e32 vcc, v0, v10
	v_add_co_u32_e64 v6, s[16:17], v6, v60
	s_or_b64 s[38:39], vcc, s[38:39]
	v_addc_co_u32_e64 v7, vcc, v7, v61, s[16:17]
	s_andn2_b64 exec, exec, s[38:39]
	s_cbranch_execnz .LBB14_119
.LBB14_120:                             ;   in Loop: Header=BB14_55 Depth=1
	s_or_b64 exec, exec, s[36:37]
.LBB14_121:                             ;   in Loop: Header=BB14_55 Depth=1
	s_andn2_saveexec_b64 s[18:19], s[18:19]
	s_cbranch_execz .LBB14_169
; %bb.122:                              ;   in Loop: Header=BB14_55 Depth=1
	s_and_saveexec_b64 s[16:17], s[6:7]
	s_cbranch_execz .LBB14_138
; %bb.123:                              ;   in Loop: Header=BB14_55 Depth=1
	v_add_co_u32_e32 v0, vcc, 1, v4
	v_addc_co_u32_e32 v1, vcc, 0, v5, vcc
	s_waitcnt vmcnt(0) lgkmcnt(0)
	v_add_co_u32_e32 v6, vcc, 8, v54
	v_addc_co_u32_e32 v7, vcc, 0, v55, vcc
	v_cmp_lt_u64_e32 vcc, v[6:7], v[0:1]
	s_and_saveexec_b64 s[36:37], vcc
	s_cbranch_execz .LBB14_135
; %bb.124:                              ;   in Loop: Header=BB14_55 Depth=1
	s_sleep 1
	flat_load_dwordx2 v[54:55], v[50:51] glc
	v_cmp_eq_u32_e32 vcc, 0, v27
	s_and_saveexec_b64 s[38:39], vcc
	s_cbranch_execz .LBB14_134
; %bb.125:                              ;   in Loop: Header=BB14_55 Depth=1
	v_cndmask_b32_e64 v5, 0, 1, vcc
	s_mov_b64 s[40:41], 0
                                        ; implicit-def: $sgpr42_sgpr43
	s_branch .LBB14_129
.LBB14_126:                             ;   in Loop: Header=BB14_129 Depth=2
	s_or_b64 exec, exec, s[50:51]
	s_orn2_b64 s[48:49], s[48:49], exec
.LBB14_127:                             ;   in Loop: Header=BB14_129 Depth=2
	s_or_b64 exec, exec, s[46:47]
	s_xor_b64 vcc, s[48:49], -1
	s_andn2_b64 s[42:43], s[42:43], exec
	s_and_b64 vcc, vcc, exec
	s_or_b64 s[42:43], s[42:43], vcc
.LBB14_128:                             ;   in Loop: Header=BB14_129 Depth=2
	s_or_b64 exec, exec, s[44:45]
	s_and_b64 vcc, exec, s[42:43]
	s_or_b64 s[40:41], vcc, s[40:41]
	s_andn2_b64 exec, exec, s[40:41]
	s_cbranch_execz .LBB14_133
.LBB14_129:                             ;   Parent Loop BB14_55 Depth=1
                                        ; =>  This Inner Loop Header: Depth=2
	s_waitcnt vmcnt(0) lgkmcnt(0)
	v_add_co_u32_e32 v6, vcc, 8, v54
	v_addc_co_u32_e32 v7, vcc, 0, v55, vcc
	v_cmp_lt_u64_e32 vcc, v[6:7], v[0:1]
	v_mov_b32_e32 v27, 0
	s_or_b64 s[42:43], s[42:43], exec
	s_and_saveexec_b64 s[44:45], vcc
	s_cbranch_execz .LBB14_128
; %bb.130:                              ;   in Loop: Header=BB14_129 Depth=2
	s_sleep 1
	flat_load_dwordx2 v[54:55], v[50:51] glc
	v_add_u32_e32 v5, 1, v5
	v_cmp_eq_u32_e32 vcc, s54, v5
	s_mov_b64 s[48:49], -1
	v_mov_b32_e32 v27, 0
	s_and_saveexec_b64 s[46:47], vcc
	s_cbranch_execz .LBB14_127
; %bb.131:                              ;   in Loop: Header=BB14_129 Depth=2
	s_trap 2
	ds_read_b64 v[6:7], v0
	v_mov_b32_e32 v5, 0
	v_mov_b32_e32 v27, 0
	s_waitcnt vmcnt(0) lgkmcnt(0)
	flat_load_dword v6, v[6:7] glc
	s_waitcnt vmcnt(0) lgkmcnt(0)
	buffer_invl2
	buffer_wbinvl1_vol
	v_cmp_ne_u32_e32 vcc, 0, v6
	s_and_saveexec_b64 s[50:51], vcc
	s_cbranch_execz .LBB14_126
; %bb.132:                              ;   in Loop: Header=BB14_129 Depth=2
	v_mov_b32_e32 v27, 1
	s_xor_b64 s[48:49], exec, -1
	ds_write_b32 v0, v6
	s_trap 2
	s_branch .LBB14_126
.LBB14_133:                             ;   in Loop: Header=BB14_55 Depth=1
	s_or_b64 exec, exec, s[40:41]
.LBB14_134:                             ;   in Loop: Header=BB14_55 Depth=1
	s_or_b64 exec, exec, s[38:39]
.LBB14_135:                             ;   in Loop: Header=BB14_55 Depth=1
	s_or_b64 exec, exec, s[36:37]
	s_and_saveexec_b64 s[36:37], s[8:9]
	s_cbranch_execz .LBB14_137
; %bb.136:                              ;   in Loop: Header=BB14_55 Depth=1
	v_and_b32_e32 v40, 0x7ffffff8, v4
	v_cmp_eq_u64_e32 vcc, s[34:35], v[40:41]
	v_accvgpr_read_b32 v5, a33
	v_cndmask_b32_e32 v5, v5, v10, vcc
	v_lshlrev_b32_e32 v6, 4, v5
	v_and_b32_e32 v4, 7, v4
	v_ashrrev_i32_e32 v7, 31, v6
	v_mad_u64_u32 v[4:5], vcc, v4, 24, v[2:3]
	flat_store_dwordx2 v[4:5], v[6:7] offset:8
	s_waitcnt vmcnt(0)
.LBB14_137:                             ;   in Loop: Header=BB14_55 Depth=1
	s_or_b64 exec, exec, s[36:37]
	v_pk_mov_b32 v[4:5], v[0:1], v[0:1] op_sel:[0,1]
.LBB14_138:                             ;   in Loop: Header=BB14_55 Depth=1
	s_or_b64 exec, exec, s[16:17]
	s_and_saveexec_b64 s[16:17], s[10:11]
	s_cbranch_execz .LBB14_157
; %bb.139:                              ;   in Loop: Header=BB14_55 Depth=1
	s_and_saveexec_b64 vcc, s[28:29]
	s_xor_b64 s[36:37], exec, vcc
	s_cbranch_execz .LBB14_154
; %bb.140:                              ;   in Loop: Header=BB14_55 Depth=1
	s_and_saveexec_b64 s[38:39], s[12:13]
	s_cbranch_execz .LBB14_153
; %bb.141:                              ;   in Loop: Header=BB14_55 Depth=1
	s_mov_b64 s[42:43], exec
	v_mbcnt_lo_u32_b32 v0, s42, 0
	v_mbcnt_hi_u32_b32 v0, s43, v0
	v_cmp_eq_u32_e32 vcc, 0, v0
	s_waitcnt vmcnt(0) lgkmcnt(0)
	buffer_wbinvl1_vol
	s_and_saveexec_b64 s[40:41], vcc
	s_cbranch_execz .LBB14_143
; %bb.142:                              ;   in Loop: Header=BB14_55 Depth=1
	s_bcnt1_i32_b64 vcc_lo, s[42:43]
	v_mov_b32_e32 v40, vcc_lo
	ds_add_u64 v0, v[40:41]
	s_trap 2
.LBB14_143:                             ;   in Loop: Header=BB14_55 Depth=1
	s_or_b64 exec, exec, s[40:41]
	s_trap 2
	ds_read_b64 v[0:1], v0
	v_accvgpr_read_b32 v6, a22
	v_add_co_u32_e32 v52, vcc, v52, v6
	v_accvgpr_read_b32 v7, a11
	v_addc_co_u32_e32 v53, vcc, v53, v7, vcc
	s_waitcnt lgkmcnt(0)
	v_cmp_lt_u64_e32 vcc, v[0:1], v[52:53]
	s_and_saveexec_b64 s[40:41], vcc
	s_cbranch_execz .LBB14_152
; %bb.144:                              ;   in Loop: Header=BB14_55 Depth=1
	s_mov_b32 s55, 0
	s_mov_b64 s[42:43], 0
                                        ; implicit-def: $sgpr44_sgpr45
                                        ; implicit-def: $sgpr46_sgpr47
	s_branch .LBB14_146
.LBB14_145:                             ;   in Loop: Header=BB14_146 Depth=2
	s_or_b64 exec, exec, s[50:51]
	s_and_b64 vcc, exec, vcc
	s_or_b64 s[42:43], vcc, s[42:43]
	s_andn2_b64 vcc, s[44:45], exec
	s_and_b64 s[44:45], s[46:47], exec
	s_or_b64 s[44:45], vcc, s[44:45]
	s_andn2_b64 exec, exec, s[42:43]
	s_cbranch_execz .LBB14_150
.LBB14_146:                             ;   Parent Loop BB14_55 Depth=1
                                        ; =>  This Inner Loop Header: Depth=2
	s_add_i32 s55, s55, 1
	s_cmpk_lg_i32 s55, 0x2710
	s_cselect_b64 s[48:49], -1, 0
	s_and_b64 vcc, exec, s[48:49]
                                        ; implicit-def: $sgpr50_sgpr51
	s_cbranch_vccnz .LBB14_148
; %bb.147:                              ;   in Loop: Header=BB14_146 Depth=2
	s_trap 2
	ds_read_b64 v[0:1], v0
	s_andn2_b64 s[48:49], s[48:49], exec
	s_mov_b32 s55, 0
	s_mov_b64 s[50:51], -1
	s_waitcnt lgkmcnt(0)
	flat_load_dword v0, v[0:1] glc
	s_waitcnt vmcnt(0) lgkmcnt(0)
	buffer_invl2
	buffer_wbinvl1_vol
	v_cmp_eq_u32_e32 vcc, 0, v0
	s_and_b64 vcc, vcc, exec
	s_or_b64 s[48:49], s[48:49], vcc
.LBB14_148:                             ;   in Loop: Header=BB14_146 Depth=2
	s_andn2_b64 s[46:47], s[46:47], exec
	s_and_b64 s[50:51], s[50:51], exec
	s_mov_b64 vcc, -1
	s_or_b64 s[46:47], s[46:47], s[50:51]
	s_and_saveexec_b64 s[50:51], s[48:49]
	s_cbranch_execz .LBB14_145
; %bb.149:                              ;   in Loop: Header=BB14_146 Depth=2
	s_sleep 1
	s_trap 2
	ds_read_b64 v[0:1], v0
	s_andn2_b64 s[46:47], s[46:47], exec
	s_waitcnt lgkmcnt(0)
	v_cmp_ge_u64_e32 vcc, v[0:1], v[52:53]
	s_orn2_b64 vcc, vcc, exec
	s_branch .LBB14_145
.LBB14_150:                             ;   in Loop: Header=BB14_55 Depth=1
	s_or_b64 exec, exec, s[42:43]
	s_and_saveexec_b64 vcc, s[44:45]
	s_xor_b64 vcc, exec, vcc
	s_cbranch_execz .LBB14_152
; %bb.151:                              ;   in Loop: Header=BB14_55 Depth=1
	v_mov_b32_e32 v0, 1
	ds_write_b32 v0, v0
	s_trap 2
.LBB14_152:                             ;   in Loop: Header=BB14_55 Depth=1
	s_or_b64 exec, exec, s[40:41]
	;;#ASMSTART
	s_wakeup
	;;#ASMEND
.LBB14_153:                             ;   in Loop: Header=BB14_55 Depth=1
	s_or_b64 exec, exec, s[38:39]
.LBB14_154:                             ;   in Loop: Header=BB14_55 Depth=1
	s_andn2_saveexec_b64 vcc, s[36:37]
	s_cbranch_execz .LBB14_156
; %bb.155:                              ;   in Loop: Header=BB14_55 Depth=1
	s_waitcnt vmcnt(0) lgkmcnt(0)
	buffer_wbinvl1_vol
	s_barrier
.LBB14_156:                             ;   in Loop: Header=BB14_55 Depth=1
	s_or_b64 exec, exec, vcc
.LBB14_157:                             ;   in Loop: Header=BB14_55 Depth=1
	s_or_b64 exec, exec, s[16:17]
	v_sub_u32_e32 v8, v24, v46
	v_cmp_lt_i32_e32 vcc, 0, v8
	v_and_b32_e32 v1, 7, v16
	v_mov_b32_e32 v0, v26
	s_and_saveexec_b64 s[16:17], vcc
	s_cbranch_execz .LBB14_165
; %bb.158:                              ;   in Loop: Header=BB14_55 Depth=1
	v_mul_lo_u32 v6, v1, v10
	v_ashrrev_i32_e32 v7, 31, v6
	v_mov_b32_e32 v11, v16
	v_add_co_u32_e64 v9, vcc, 0, 0
	v_addc_co_u32_e32 v13, vcc, 1, v11, vcc
	v_lshlrev_b64 v[6:7], 4, v[6:7]
	v_accvgpr_read_b32 v0, a31
	v_add_co_u32_e32 v6, vcc, v0, v6
	v_accvgpr_read_b32 v0, a32
	v_mov_b32_e32 v49, v24
	v_addc_co_u32_e32 v7, vcc, v0, v7, vcc
	s_mov_b64 s[36:37], 0
	v_accvgpr_read_b32 v11, a28
	v_pk_mov_b32 v[18:19], v[58:59], v[58:59] op_sel:[0,1]
	v_mov_b32_e32 v0, v26
	s_branch .LBB14_160
.LBB14_159:                             ;   in Loop: Header=BB14_160 Depth=2
	s_or_b64 exec, exec, s[38:39]
	v_add_co_u32_e32 v18, vcc, v18, v56
	s_waitcnt vmcnt(0)
	v_alignbit_b32 v12, v48, v12, v11
	v_alignbit_b32 v14, v21, v48, v11
	v_sub_u32_e32 v8, v8, v56
	v_addc_co_u32_e32 v19, vcc, v19, v57, vcc
	v_or_b32_e32 v12, v9, v12
	v_or_b32_e32 v14, v9, v14
	v_mov_b32_e32 v15, v13
	v_cmp_gt_i32_e32 vcc, 1, v8
	global_store_dwordx4 v[6:7], v[12:15], off
	s_or_b64 s[36:37], vcc, s[36:37]
	v_accvgpr_read_b32 v12, a30
	v_add_co_u32_e32 v6, vcc, v6, v60
	v_add_u32_e32 v0, v0, v20
	v_add_u32_e32 v11, v11, v12
	v_addc_co_u32_e32 v7, vcc, v7, v61, vcc
	s_andn2_b64 exec, exec, s[36:37]
	s_cbranch_execz .LBB14_164
.LBB14_160:                             ;   Parent Loop BB14_55 Depth=1
                                        ; =>  This Inner Loop Header: Depth=2
	v_and_b32_e32 v14, -4, v18
	v_mov_b32_e32 v15, v19
	global_load_dword v12, v[14:15], off glc slc
	v_min_u32_e32 v24, 8, v8
	v_and_b32_e32 v25, 3, v18
	v_add_co_u32_e32 v30, vcc, v25, v24
	v_addc_co_u32_e64 v31, vcc, 0, 0, vcc
	v_mov_b32_e32 v21, 0
	v_cmp_lt_u64_e32 vcc, 4, v[30:31]
	v_mov_b32_e32 v48, 0
	s_and_saveexec_b64 s[38:39], vcc
	s_cbranch_execz .LBB14_162
; %bb.161:                              ;   in Loop: Header=BB14_160 Depth=2
	global_load_dword v48, v[14:15], off offset:4 glc slc
.LBB14_162:                             ;   in Loop: Header=BB14_160 Depth=2
	s_or_b64 exec, exec, s[38:39]
	v_cmp_lt_u64_e32 vcc, 8, v[30:31]
	s_and_saveexec_b64 s[38:39], vcc
	s_cbranch_execz .LBB14_159
; %bb.163:                              ;   in Loop: Header=BB14_160 Depth=2
	global_load_dword v21, v[14:15], off offset:8 glc slc
	s_branch .LBB14_159
.LBB14_164:                             ;   in Loop: Header=BB14_55 Depth=1
	s_or_b64 exec, exec, s[36:37]
	v_mov_b32_e32 v24, v49
.LBB14_165:                             ;   in Loop: Header=BB14_55 Depth=1
	s_or_b64 exec, exec, s[16:17]
	v_and_b32_e32 v40, 0x7ffffff8, v16
	v_cmp_eq_u64_e32 vcc, s[34:35], v[40:41]
	v_cmp_gt_i32_e64 s[16:17], v10, v0
	s_and_b64 s[16:17], vcc, s[16:17]
	s_and_saveexec_b64 s[36:37], s[16:17]
	s_cbranch_execz .LBB14_168
; %bb.166:                              ;   in Loop: Header=BB14_55 Depth=1
	v_mul_lo_u32 v6, v1, v10
	v_mov_b32_e32 v1, v16
	v_add_co_u32_e64 v12, vcc, 0, 0
	v_ashrrev_i32_e32 v7, 31, v6
	v_addc_co_u32_e32 v13, vcc, 1, v1, vcc
	v_ashrrev_i32_e32 v1, 31, v0
	v_lshlrev_b64 v[8:9], 4, v[0:1]
	v_lshlrev_b64 v[6:7], 4, v[6:7]
	v_add_co_u32_e32 v1, vcc, v8, v6
	v_addc_co_u32_e32 v7, vcc, v9, v7, vcc
	v_add_co_u32_e32 v6, vcc, v36, v1
	v_addc_co_u32_e32 v7, vcc, v37, v7, vcc
	s_mov_b64 s[38:39], 0
.LBB14_167:                             ;   Parent Loop BB14_55 Depth=1
                                        ; =>  This Inner Loop Header: Depth=2
	v_mov_b32_e32 v14, v12
	v_mov_b32_e32 v15, v13
	v_add_u32_e32 v0, v0, v20
	global_store_dwordx4 v[6:7], v[12:15], off
	v_cmp_ge_i32_e32 vcc, v0, v10
	v_add_co_u32_e64 v6, s[16:17], v6, v60
	s_or_b64 s[38:39], vcc, s[38:39]
	v_addc_co_u32_e64 v7, vcc, v7, v61, s[16:17]
	s_andn2_b64 exec, exec, s[38:39]
	s_cbranch_execnz .LBB14_167
.LBB14_168:                             ;   in Loop: Header=BB14_55 Depth=1
	s_or_b64 exec, exec, s[36:37]
.LBB14_169:                             ;   in Loop: Header=BB14_55 Depth=1
	s_or_b64 exec, exec, s[18:19]
	v_accvgpr_write_b32 a24, v46
	v_add_co_u32_e32 v46, vcc, 1, v16
	v_accvgpr_write_b32 a26, v47
	v_addc_co_u32_e32 v47, vcc, 0, v17, vcc
	v_accvgpr_read_b32 v0, a24
	s_andn2_b64 vcc, exec, s[30:31]
	v_sub_u32_e32 v21, v24, v0
	s_cbranch_vccnz .LBB14_171
; %bb.170:                              ;   in Loop: Header=BB14_55 Depth=1
	v_sub_u32_e32 v6, v24, v0
	s_cbranch_execz .LBB14_172
	s_branch .LBB14_269
.LBB14_171:                             ;   in Loop: Header=BB14_55 Depth=1
                                        ; implicit-def: $vgpr6
.LBB14_172:                             ;   in Loop: Header=BB14_55 Depth=1
	v_accvgpr_read_b32 v0, a23
	v_accvgpr_read_b32 v6, a36
	;; [unrolled: 1-line block ×3, first 2 shown]
	v_add_co_u32_e32 v44, vcc, v0, v6
	v_accvgpr_read_b32 v0, a25
	v_cmp_lt_i32_e64 s[16:17], 0, v21
	v_addc_co_u32_e32 v45, vcc, v0, v7, vcc
	v_add_u16_e32 v11, 1, v16
	s_mov_b32 s55, 1
.LBB14_173:                             ;   Parent Loop BB14_55 Depth=1
                                        ; =>  This Loop Header: Depth=2
                                        ;       Child Loop BB14_190 Depth 3
                                        ;       Child Loop BB14_206 Depth 3
	;; [unrolled: 1-line block ×3, first 2 shown]
                                        ;         Child Loop BB14_223 Depth 4
                                        ;       Child Loop BB14_257 Depth 3
                                        ;       Child Loop BB14_181 Depth 3
	s_sub_i32 s18, s52, s55
	s_ashr_i32 s19, s18, 31
	s_lshl_b64 s[18:19], s[18:19], 2
	v_mov_b32_e32 v1, s19
	v_add_co_u32_e32 v0, vcc, s18, v22
	v_addc_co_u32_e32 v1, vcc, v23, v1, vcc
	s_waitcnt vmcnt(0) lgkmcnt(0)
	flat_load_dword v6, v[0:1]
	s_and_saveexec_b64 s[18:19], s[6:7]
	s_cbranch_execnz .LBB14_184
; %bb.174:                              ;   in Loop: Header=BB14_173 Depth=2
	s_or_b64 exec, exec, s[18:19]
	s_and_saveexec_b64 s[18:19], s[10:11]
	s_cbranch_execnz .LBB14_199
.LBB14_175:                             ;   in Loop: Header=BB14_173 Depth=2
	s_or_b64 exec, exec, s[18:19]
	v_mov_b32_e32 v0, v26
	s_and_saveexec_b64 s[36:37], s[16:17]
	s_cbranch_execnz .LBB14_217
.LBB14_176:                             ;   in Loop: Header=BB14_173 Depth=2
	s_or_b64 exec, exec, s[36:37]
	s_and_saveexec_b64 s[18:19], s[10:11]
	s_cbranch_execnz .LBB14_250
.LBB14_177:                             ;   in Loop: Header=BB14_173 Depth=2
	s_or_b64 exec, exec, s[18:19]
	s_and_saveexec_b64 s[18:19], s[14:15]
	s_cbranch_execz .LBB14_179
.LBB14_178:                             ;   in Loop: Header=BB14_173 Depth=2
	v_add_co_u32_e32 v38, vcc, 1, v38
	s_waitcnt vmcnt(0) lgkmcnt(0)
	v_accvgpr_read_b32 v6, a16
	v_addc_co_u32_e32 v39, vcc, 0, v39, vcc
	v_accvgpr_read_b32 v7, a17
	flat_store_dwordx2 v[6:7], v[38:39]
.LBB14_179:                             ;   in Loop: Header=BB14_173 Depth=2
	s_or_b64 exec, exec, s[18:19]
	v_and_b32_e32 v40, 0x7ffffff8, v46
	v_cmp_eq_u64_e32 vcc, s[34:35], v[40:41]
	v_cmp_gt_i32_e64 s[18:19], v10, v0
	s_and_b64 s[18:19], vcc, s[18:19]
	s_and_saveexec_b64 s[36:37], s[18:19]
	s_cbranch_execz .LBB14_182
; %bb.180:                              ;   in Loop: Header=BB14_173 Depth=2
	v_and_b32_e32 v1, 7, v11
	s_waitcnt vmcnt(0) lgkmcnt(0)
	v_mul_lo_u32 v6, v10, v1
	v_mov_b32_e32 v1, v46
	v_add_co_u32_e64 v12, vcc, 0, 0
	v_ashrrev_i32_e32 v7, 31, v6
	v_addc_co_u32_e32 v13, vcc, 1, v1, vcc
	v_ashrrev_i32_e32 v1, 31, v0
	v_lshlrev_b64 v[6:7], 4, v[6:7]
	v_lshlrev_b64 v[8:9], 4, v[0:1]
	v_add_co_u32_e32 v1, vcc, v8, v6
	v_addc_co_u32_e32 v7, vcc, v9, v7, vcc
	v_add_co_u32_e32 v6, vcc, v36, v1
	v_addc_co_u32_e32 v7, vcc, v37, v7, vcc
	s_mov_b64 s[38:39], 0
.LBB14_181:                             ;   Parent Loop BB14_55 Depth=1
                                        ;     Parent Loop BB14_173 Depth=2
                                        ; =>    This Inner Loop Header: Depth=3
	v_mov_b32_e32 v14, v12
	v_mov_b32_e32 v15, v13
	v_add_u32_e32 v0, v0, v20
	global_store_dwordx4 v[6:7], v[12:15], off
	v_cmp_ge_i32_e32 vcc, v0, v10
	v_add_co_u32_e64 v6, s[18:19], v6, v60
	s_or_b64 s[38:39], vcc, s[38:39]
	v_addc_co_u32_e64 v7, vcc, v7, v61, s[18:19]
	s_andn2_b64 exec, exec, s[38:39]
	s_cbranch_execnz .LBB14_181
.LBB14_182:                             ;   in Loop: Header=BB14_173 Depth=2
	s_or_b64 exec, exec, s[36:37]
	v_add_co_u32_e32 v34, vcc, 1, v34
	v_addc_co_u32_e32 v35, vcc, 0, v35, vcc
	s_add_i32 s18, s55, 1
	v_add_co_u32_e32 v46, vcc, 1, v46
	v_addc_co_u32_e32 v47, vcc, 0, v47, vcc
	s_cmp_eq_u32 s55, s53
	v_add_u16_e32 v11, 1, v11
	s_cbranch_scc1 .LBB14_268
; %bb.183:                              ;   in Loop: Header=BB14_173 Depth=2
	s_mov_b32 s55, s18
	s_branch .LBB14_173
.LBB14_184:                             ;   in Loop: Header=BB14_173 Depth=2
	v_add_co_u32_e32 v0, vcc, 1, v4
	v_addc_co_u32_e32 v1, vcc, 0, v5, vcc
	s_waitcnt vmcnt(0) lgkmcnt(0)
	v_add_co_u32_e32 v8, vcc, 8, v54
	v_addc_co_u32_e32 v9, vcc, 0, v55, vcc
	v_cmp_lt_u64_e32 vcc, v[8:9], v[0:1]
	s_and_saveexec_b64 s[36:37], vcc
	s_cbranch_execz .LBB14_196
; %bb.185:                              ;   in Loop: Header=BB14_173 Depth=2
	s_sleep 1
	flat_load_dwordx2 v[54:55], v[50:51] glc
	v_cmp_eq_u32_e32 vcc, 0, v27
	s_and_saveexec_b64 s[38:39], vcc
	s_cbranch_execz .LBB14_195
; %bb.186:                              ;   in Loop: Header=BB14_173 Depth=2
	v_cndmask_b32_e64 v5, 0, 1, vcc
	s_mov_b64 s[40:41], 0
                                        ; implicit-def: $sgpr42_sgpr43
	s_branch .LBB14_190
.LBB14_187:                             ;   in Loop: Header=BB14_190 Depth=3
	s_or_b64 exec, exec, s[50:51]
	s_orn2_b64 s[48:49], s[48:49], exec
.LBB14_188:                             ;   in Loop: Header=BB14_190 Depth=3
	s_or_b64 exec, exec, s[46:47]
	s_xor_b64 vcc, s[48:49], -1
	s_andn2_b64 s[42:43], s[42:43], exec
	s_and_b64 vcc, vcc, exec
	s_or_b64 s[42:43], s[42:43], vcc
.LBB14_189:                             ;   in Loop: Header=BB14_190 Depth=3
	s_or_b64 exec, exec, s[44:45]
	s_and_b64 vcc, exec, s[42:43]
	s_or_b64 s[40:41], vcc, s[40:41]
	s_andn2_b64 exec, exec, s[40:41]
	s_cbranch_execz .LBB14_194
.LBB14_190:                             ;   Parent Loop BB14_55 Depth=1
                                        ;     Parent Loop BB14_173 Depth=2
                                        ; =>    This Inner Loop Header: Depth=3
	s_waitcnt vmcnt(0) lgkmcnt(0)
	v_add_co_u32_e32 v8, vcc, 8, v54
	v_addc_co_u32_e32 v9, vcc, 0, v55, vcc
	v_cmp_lt_u64_e32 vcc, v[8:9], v[0:1]
	v_mov_b32_e32 v27, 0
	s_or_b64 s[42:43], s[42:43], exec
	s_and_saveexec_b64 s[44:45], vcc
	s_cbranch_execz .LBB14_189
; %bb.191:                              ;   in Loop: Header=BB14_190 Depth=3
	s_sleep 1
	flat_load_dwordx2 v[54:55], v[50:51] glc
	v_add_u32_e32 v5, 1, v5
	v_cmp_eq_u32_e32 vcc, s54, v5
	s_mov_b64 s[48:49], -1
	v_mov_b32_e32 v27, 0
	s_and_saveexec_b64 s[46:47], vcc
	s_cbranch_execz .LBB14_188
; %bb.192:                              ;   in Loop: Header=BB14_190 Depth=3
	s_trap 2
	ds_read_b64 v[8:9], v0
	v_mov_b32_e32 v5, 0
	v_mov_b32_e32 v27, 0
	s_waitcnt vmcnt(0) lgkmcnt(0)
	flat_load_dword v7, v[8:9] glc
	s_waitcnt vmcnt(0) lgkmcnt(0)
	buffer_invl2
	buffer_wbinvl1_vol
	v_cmp_ne_u32_e32 vcc, 0, v7
	s_and_saveexec_b64 s[50:51], vcc
	s_cbranch_execz .LBB14_187
; %bb.193:                              ;   in Loop: Header=BB14_190 Depth=3
	v_mov_b32_e32 v27, 1
	s_xor_b64 s[48:49], exec, -1
	ds_write_b32 v0, v7
	s_trap 2
	s_branch .LBB14_187
.LBB14_194:                             ;   in Loop: Header=BB14_173 Depth=2
	s_or_b64 exec, exec, s[40:41]
.LBB14_195:                             ;   in Loop: Header=BB14_173 Depth=2
	s_or_b64 exec, exec, s[38:39]
.LBB14_196:                             ;   in Loop: Header=BB14_173 Depth=2
	s_or_b64 exec, exec, s[36:37]
	s_and_saveexec_b64 s[36:37], s[8:9]
	s_cbranch_execz .LBB14_198
; %bb.197:                              ;   in Loop: Header=BB14_173 Depth=2
	v_and_b32_e32 v40, 0x7ffffff8, v4
	v_cmp_eq_u64_e32 vcc, s[34:35], v[40:41]
	v_accvgpr_read_b32 v5, a33
	v_cndmask_b32_e32 v5, v5, v10, vcc
	v_lshlrev_b32_e32 v8, 4, v5
	v_and_b32_e32 v4, 7, v4
	v_ashrrev_i32_e32 v9, 31, v8
	v_mad_u64_u32 v[4:5], vcc, v4, 24, v[2:3]
	flat_store_dwordx2 v[4:5], v[8:9] offset:8
	s_waitcnt vmcnt(0)
.LBB14_198:                             ;   in Loop: Header=BB14_173 Depth=2
	s_or_b64 exec, exec, s[36:37]
	v_pk_mov_b32 v[4:5], v[0:1], v[0:1] op_sel:[0,1]
	s_or_b64 exec, exec, s[18:19]
	s_and_saveexec_b64 s[18:19], s[10:11]
	s_cbranch_execz .LBB14_175
.LBB14_199:                             ;   in Loop: Header=BB14_173 Depth=2
	s_and_saveexec_b64 vcc, s[28:29]
	s_xor_b64 s[36:37], exec, vcc
	s_cbranch_execz .LBB14_214
; %bb.200:                              ;   in Loop: Header=BB14_173 Depth=2
	s_and_saveexec_b64 s[38:39], s[12:13]
	s_cbranch_execz .LBB14_213
; %bb.201:                              ;   in Loop: Header=BB14_173 Depth=2
	s_mov_b64 s[42:43], exec
	v_mbcnt_lo_u32_b32 v0, s42, 0
	v_mbcnt_hi_u32_b32 v0, s43, v0
	v_cmp_eq_u32_e32 vcc, 0, v0
	s_waitcnt vmcnt(0) lgkmcnt(0)
	buffer_wbinvl1_vol
	s_and_saveexec_b64 s[40:41], vcc
	s_cbranch_execz .LBB14_203
; %bb.202:                              ;   in Loop: Header=BB14_173 Depth=2
	s_bcnt1_i32_b64 vcc_lo, s[42:43]
	v_mov_b32_e32 v40, vcc_lo
	ds_add_u64 v0, v[40:41]
	s_trap 2
.LBB14_203:                             ;   in Loop: Header=BB14_173 Depth=2
	s_or_b64 exec, exec, s[40:41]
	s_trap 2
	ds_read_b64 v[0:1], v0
	v_accvgpr_read_b32 v8, a22
	v_add_co_u32_e32 v52, vcc, v52, v8
	v_accvgpr_read_b32 v7, a11
	v_addc_co_u32_e32 v53, vcc, v53, v7, vcc
	s_waitcnt lgkmcnt(0)
	v_cmp_lt_u64_e32 vcc, v[0:1], v[52:53]
	s_and_saveexec_b64 s[40:41], vcc
	s_cbranch_execz .LBB14_212
; %bb.204:                              ;   in Loop: Header=BB14_173 Depth=2
	s_mov_b32 s56, 0
	s_mov_b64 s[42:43], 0
                                        ; implicit-def: $sgpr44_sgpr45
                                        ; implicit-def: $sgpr46_sgpr47
	s_branch .LBB14_206
.LBB14_205:                             ;   in Loop: Header=BB14_206 Depth=3
	s_or_b64 exec, exec, s[50:51]
	s_and_b64 vcc, exec, vcc
	s_or_b64 s[42:43], vcc, s[42:43]
	s_andn2_b64 vcc, s[44:45], exec
	s_and_b64 s[44:45], s[46:47], exec
	s_or_b64 s[44:45], vcc, s[44:45]
	s_andn2_b64 exec, exec, s[42:43]
	s_cbranch_execz .LBB14_210
.LBB14_206:                             ;   Parent Loop BB14_55 Depth=1
                                        ;     Parent Loop BB14_173 Depth=2
                                        ; =>    This Inner Loop Header: Depth=3
	s_add_i32 s56, s56, 1
	s_cmpk_lg_i32 s56, 0x2710
	s_cselect_b64 s[48:49], -1, 0
	s_and_b64 vcc, exec, s[48:49]
                                        ; implicit-def: $sgpr50_sgpr51
	s_cbranch_vccnz .LBB14_208
; %bb.207:                              ;   in Loop: Header=BB14_206 Depth=3
	s_trap 2
	ds_read_b64 v[0:1], v0
	s_andn2_b64 s[48:49], s[48:49], exec
	s_mov_b32 s56, 0
	s_mov_b64 s[50:51], -1
	s_waitcnt lgkmcnt(0)
	flat_load_dword v0, v[0:1] glc
	s_waitcnt vmcnt(0) lgkmcnt(0)
	buffer_invl2
	buffer_wbinvl1_vol
	v_cmp_eq_u32_e32 vcc, 0, v0
	s_and_b64 vcc, vcc, exec
	s_or_b64 s[48:49], s[48:49], vcc
.LBB14_208:                             ;   in Loop: Header=BB14_206 Depth=3
	s_andn2_b64 s[46:47], s[46:47], exec
	s_and_b64 s[50:51], s[50:51], exec
	s_mov_b64 vcc, -1
	s_or_b64 s[46:47], s[46:47], s[50:51]
	s_and_saveexec_b64 s[50:51], s[48:49]
	s_cbranch_execz .LBB14_205
; %bb.209:                              ;   in Loop: Header=BB14_206 Depth=3
	s_sleep 1
	s_trap 2
	ds_read_b64 v[0:1], v0
	s_andn2_b64 s[46:47], s[46:47], exec
	s_waitcnt lgkmcnt(0)
	v_cmp_ge_u64_e32 vcc, v[0:1], v[52:53]
	s_orn2_b64 vcc, vcc, exec
	s_branch .LBB14_205
.LBB14_210:                             ;   in Loop: Header=BB14_173 Depth=2
	s_or_b64 exec, exec, s[42:43]
	s_and_saveexec_b64 vcc, s[44:45]
	s_xor_b64 vcc, exec, vcc
	s_cbranch_execz .LBB14_212
; %bb.211:                              ;   in Loop: Header=BB14_173 Depth=2
	v_mov_b32_e32 v0, 1
	ds_write_b32 v0, v0
	s_trap 2
.LBB14_212:                             ;   in Loop: Header=BB14_173 Depth=2
	s_or_b64 exec, exec, s[40:41]
	;;#ASMSTART
	s_wakeup
	;;#ASMEND
.LBB14_213:                             ;   in Loop: Header=BB14_173 Depth=2
	s_or_b64 exec, exec, s[38:39]
.LBB14_214:                             ;   in Loop: Header=BB14_173 Depth=2
	s_andn2_saveexec_b64 vcc, s[36:37]
	s_cbranch_execz .LBB14_216
; %bb.215:                              ;   in Loop: Header=BB14_173 Depth=2
	s_waitcnt vmcnt(0) lgkmcnt(0)
	buffer_wbinvl1_vol
	s_barrier
.LBB14_216:                             ;   in Loop: Header=BB14_173 Depth=2
	s_or_b64 exec, exec, vcc
	s_or_b64 exec, exec, s[18:19]
	v_mov_b32_e32 v0, v26
	s_and_saveexec_b64 s[36:37], s[16:17]
	s_cbranch_execz .LBB14_176
.LBB14_217:                             ;   in Loop: Header=BB14_173 Depth=2
	s_waitcnt vmcnt(0) lgkmcnt(0)
	v_ashrrev_i32_e32 v0, 31, v6
	v_accvgpr_read_b32 v1, a1
	v_mad_u64_u32 v[30:31], s[18:19], v62, v6, v[44:45]
	v_mul_lo_u32 v1, v1, v6
	v_mul_lo_u32 v0, v62, v0
	v_add3_u32 v31, v1, v31, v0
	v_and_b32_e32 v0, 7, v34
	v_mul_lo_u32 v0, v0, v10
	v_ashrrev_i32_e32 v1, 31, v0
	v_lshlrev_b64 v[0:1], 4, v[0:1]
	v_add_co_u32_e32 v40, vcc, v32, v0
	v_and_b32_e32 v0, 7, v46
	v_mul_lo_u32 v0, v0, v10
	v_addc_co_u32_e32 v9, vcc, v33, v1, vcc
	v_ashrrev_i32_e32 v1, 31, v0
	v_lshlrev_b64 v[0:1], 4, v[0:1]
	v_add_co_u32_e32 v49, vcc, v36, v0
	v_addc_co_u32_e32 v8, vcc, v37, v1, vcc
	v_mov_b32_e32 v1, v46
	v_add_co_u32_e64 v42, vcc, 0, 0
	v_add_u32_e32 v48, 1, v34
	v_addc_co_u32_e32 v13, vcc, 1, v1, vcc
	s_mov_b64 s[38:39], 0
	v_mov_b32_e32 v43, v21
	v_mov_b32_e32 v0, v26
	s_branch .LBB14_219
.LBB14_218:                             ;   in Loop: Header=BB14_219 Depth=3
	v_add_co_u32_e32 v30, vcc, v30, v56
	v_addc_co_u32_e32 v31, vcc, v31, v57, vcc
	v_sub_u32_e32 v43, v43, v56
	v_cmp_gt_i32_e32 vcc, 1, v43
	s_or_b64 s[38:39], vcc, s[38:39]
	v_add_u32_e32 v0, v0, v20
	s_andn2_b64 exec, exec, s[38:39]
	s_cbranch_execz .LBB14_249
.LBB14_219:                             ;   Parent Loop BB14_55 Depth=1
                                        ;     Parent Loop BB14_173 Depth=2
                                        ; =>    This Loop Header: Depth=3
                                        ;         Child Loop BB14_223 Depth 4
	v_ashrrev_i32_e32 v1, 31, v0
	v_lshlrev_b64 v[14:15], 4, v[0:1]
	v_add_co_u32_e32 v6, vcc, v40, v14
	v_addc_co_u32_e32 v7, vcc, v9, v15, vcc
	global_load_dwordx4 v[16:19], v[6:7], off glc slc
	v_cmp_eq_u32_e32 vcc, 0, v27
	s_and_saveexec_b64 s[40:41], vcc
	s_cbranch_execz .LBB14_231
; %bb.220:                              ;   in Loop: Header=BB14_219 Depth=3
	s_waitcnt vmcnt(0)
	v_cmp_ne_u32_e32 vcc, v48, v17
	v_cmp_ne_u32_e64 s[18:19], v48, v19
	s_or_b64 s[18:19], vcc, s[18:19]
	v_mov_b32_e32 v27, 0
	s_and_saveexec_b64 s[42:43], s[18:19]
	s_cbranch_execz .LBB14_230
; %bb.221:                              ;   in Loop: Header=BB14_219 Depth=3
	s_mov_b32 s48, 1
	s_mov_b64 s[44:45], 0
	v_mov_b32_e32 v27, 0
	s_branch .LBB14_223
.LBB14_222:                             ;   in Loop: Header=BB14_223 Depth=4
	s_or_b64 exec, exec, s[46:47]
	s_and_b64 s[18:19], exec, s[18:19]
	s_or_b64 s[44:45], s[18:19], s[44:45]
	s_andn2_b64 exec, exec, s[44:45]
	s_cbranch_execz .LBB14_229
.LBB14_223:                             ;   Parent Loop BB14_55 Depth=1
                                        ;     Parent Loop BB14_173 Depth=2
                                        ;       Parent Loop BB14_219 Depth=3
                                        ; =>      This Inner Loop Header: Depth=4
	global_load_dwordx4 v[16:19], v[6:7], off glc slc
	s_add_i32 s48, s48, 1
	s_cmpk_lg_i32 s48, 0x2710
	s_cbranch_scc1 .LBB14_227
; %bb.224:                              ;   in Loop: Header=BB14_223 Depth=4
	s_trap 2
	ds_read_b64 v[24:25], v0
	s_waitcnt vmcnt(0) lgkmcnt(0)
	flat_load_dword v1, v[24:25] glc
	s_waitcnt vmcnt(0) lgkmcnt(0)
	buffer_invl2
	buffer_wbinvl1_vol
	v_cmp_ne_u32_e32 vcc, 0, v1
	s_and_saveexec_b64 s[18:19], vcc
	s_cbranch_execz .LBB14_226
; %bb.225:                              ;   in Loop: Header=BB14_223 Depth=4
	v_mov_b32_e32 v27, 1
	ds_write_b32 v0, v1
	s_trap 2
.LBB14_226:                             ;   in Loop: Header=BB14_223 Depth=4
	s_or_b64 exec, exec, s[18:19]
	s_mov_b32 s48, 0
	v_mov_b32_e32 v1, v27
	v_cmp_eq_u32_e32 vcc, 0, v1
	s_mov_b64 s[18:19], -1
	s_and_saveexec_b64 s[46:47], vcc
	s_cbranch_execz .LBB14_222
	s_branch .LBB14_228
.LBB14_227:                             ;   in Loop: Header=BB14_223 Depth=4
	v_mov_b32_e32 v1, 0
	v_cmp_eq_u32_e32 vcc, 0, v1
	s_mov_b64 s[18:19], -1
	s_and_saveexec_b64 s[46:47], vcc
	s_cbranch_execz .LBB14_222
.LBB14_228:                             ;   in Loop: Header=BB14_223 Depth=4
	s_waitcnt vmcnt(0)
	v_cmp_eq_u32_e32 vcc, v48, v17
	v_cmp_eq_u32_e64 s[18:19], v48, v19
	s_and_b64 s[18:19], vcc, s[18:19]
	s_orn2_b64 s[18:19], s[18:19], exec
	s_branch .LBB14_222
.LBB14_229:                             ;   in Loop: Header=BB14_219 Depth=3
	s_or_b64 exec, exec, s[44:45]
.LBB14_230:                             ;   in Loop: Header=BB14_219 Depth=3
	s_or_b64 exec, exec, s[42:43]
.LBB14_231:                             ;   in Loop: Header=BB14_219 Depth=3
	s_or_b64 exec, exec, s[40:41]
	v_add_co_u32_e32 v6, vcc, v49, v14
	v_addc_co_u32_e32 v7, vcc, v8, v15, vcc
	s_waitcnt vmcnt(0)
	v_or_b32_e32 v12, v16, v42
	v_or_b32_e32 v14, v18, v42
	v_mov_b32_e32 v15, v13
	v_cmp_lt_u32_e32 vcc, 7, v43
	global_store_dwordx4 v[6:7], v[12:15], off
	v_cndmask_b32_e64 v6, 0, 1, vcc
	;;#ASMSTART
	;;#ASMEND
	v_cmp_ne_u32_e64 s[18:19], 0, v6
	v_mov_b32_e32 v1, v18
	s_cmp_lg_u64 s[18:19], exec
	s_mov_b64 s[18:19], -1
	s_cbranch_scc0 .LBB14_241
; %bb.232:                              ;   in Loop: Header=BB14_219 Depth=3
	v_cmp_ne_u32_e64 s[18:19], 1, v43
	flat_store_byte v[30:31], v16
	s_and_saveexec_b64 s[40:41], s[18:19]
	s_cbranch_execnz .LBB14_243
; %bb.233:                              ;   in Loop: Header=BB14_219 Depth=3
	s_or_b64 exec, exec, s[40:41]
	v_cmp_lt_u32_e64 s[18:19], 2, v43
	s_and_saveexec_b64 s[40:41], s[18:19]
	s_cbranch_execnz .LBB14_244
.LBB14_234:                             ;   in Loop: Header=BB14_219 Depth=3
	s_or_b64 exec, exec, s[40:41]
	v_cmp_lt_u32_e64 s[18:19], 3, v43
	s_and_saveexec_b64 s[40:41], s[18:19]
	s_cbranch_execnz .LBB14_245
.LBB14_235:                             ;   in Loop: Header=BB14_219 Depth=3
	s_or_b64 exec, exec, s[40:41]
	v_cmp_lt_u32_e64 s[18:19], 4, v43
	s_and_saveexec_b64 s[40:41], s[18:19]
	s_cbranch_execnz .LBB14_246
.LBB14_236:                             ;   in Loop: Header=BB14_219 Depth=3
	s_or_b64 exec, exec, s[40:41]
	v_cmp_lt_u32_e64 s[18:19], 5, v43
	s_and_saveexec_b64 s[40:41], s[18:19]
	s_cbranch_execnz .LBB14_247
.LBB14_237:                             ;   in Loop: Header=BB14_219 Depth=3
	s_or_b64 exec, exec, s[40:41]
	v_cmp_lt_u32_e64 s[18:19], 6, v43
	s_and_saveexec_b64 s[40:41], s[18:19]
	s_cbranch_execnz .LBB14_248
.LBB14_238:                             ;   in Loop: Header=BB14_219 Depth=3
	s_or_b64 exec, exec, s[40:41]
	s_and_saveexec_b64 s[18:19], vcc
	s_cbranch_execz .LBB14_240
.LBB14_239:                             ;   in Loop: Header=BB14_219 Depth=3
	v_lshrrev_b32_e32 v6, 24, v1
	flat_store_byte v[30:31], v6 offset:7
.LBB14_240:                             ;   in Loop: Header=BB14_219 Depth=3
	s_or_b64 exec, exec, s[18:19]
	s_mov_b64 s[18:19], 0
.LBB14_241:                             ;   in Loop: Header=BB14_219 Depth=3
	s_and_b64 vcc, exec, s[18:19]
	s_cbranch_vccz .LBB14_218
; %bb.242:                              ;   in Loop: Header=BB14_219 Depth=3
	v_or_b32_e32 v17, 0, v1
	global_store_dwordx2 v[30:31], v[16:17], off
	s_branch .LBB14_218
.LBB14_243:                             ;   in Loop: Header=BB14_219 Depth=3
	v_lshrrev_b32_e32 v6, 8, v16
	flat_store_byte v[30:31], v6 offset:1
	s_or_b64 exec, exec, s[40:41]
	v_cmp_lt_u32_e64 s[18:19], 2, v43
	s_and_saveexec_b64 s[40:41], s[18:19]
	s_cbranch_execz .LBB14_234
.LBB14_244:                             ;   in Loop: Header=BB14_219 Depth=3
	flat_store_byte_d16_hi v[30:31], v16 offset:2
	s_or_b64 exec, exec, s[40:41]
	v_cmp_lt_u32_e64 s[18:19], 3, v43
	s_and_saveexec_b64 s[40:41], s[18:19]
	s_cbranch_execz .LBB14_235
.LBB14_245:                             ;   in Loop: Header=BB14_219 Depth=3
	v_lshrrev_b32_e32 v6, 24, v16
	flat_store_byte v[30:31], v6 offset:3
	s_or_b64 exec, exec, s[40:41]
	v_cmp_lt_u32_e64 s[18:19], 4, v43
	s_and_saveexec_b64 s[40:41], s[18:19]
	s_cbranch_execz .LBB14_236
.LBB14_246:                             ;   in Loop: Header=BB14_219 Depth=3
	flat_store_byte v[30:31], v18 offset:4
	s_or_b64 exec, exec, s[40:41]
	v_cmp_lt_u32_e64 s[18:19], 5, v43
	s_and_saveexec_b64 s[40:41], s[18:19]
	s_cbranch_execz .LBB14_237
.LBB14_247:                             ;   in Loop: Header=BB14_219 Depth=3
	v_lshrrev_b32_e32 v6, 8, v1
	flat_store_byte v[30:31], v6 offset:5
	s_or_b64 exec, exec, s[40:41]
	v_cmp_lt_u32_e64 s[18:19], 6, v43
	s_and_saveexec_b64 s[40:41], s[18:19]
	s_cbranch_execz .LBB14_238
.LBB14_248:                             ;   in Loop: Header=BB14_219 Depth=3
	flat_store_byte_d16_hi v[30:31], v1 offset:6
	s_or_b64 exec, exec, s[40:41]
	s_and_saveexec_b64 s[18:19], vcc
	s_cbranch_execnz .LBB14_239
	s_branch .LBB14_240
.LBB14_249:                             ;   in Loop: Header=BB14_173 Depth=2
	s_or_b64 exec, exec, s[38:39]
	s_or_b64 exec, exec, s[36:37]
	s_and_saveexec_b64 s[18:19], s[10:11]
	s_cbranch_execz .LBB14_177
.LBB14_250:                             ;   in Loop: Header=BB14_173 Depth=2
	s_and_saveexec_b64 vcc, s[28:29]
	s_xor_b64 s[36:37], exec, vcc
	s_cbranch_execz .LBB14_265
; %bb.251:                              ;   in Loop: Header=BB14_173 Depth=2
	s_and_saveexec_b64 s[38:39], s[12:13]
	s_cbranch_execz .LBB14_264
; %bb.252:                              ;   in Loop: Header=BB14_173 Depth=2
	s_mov_b64 s[42:43], exec
	v_mbcnt_lo_u32_b32 v1, s42, 0
	v_mbcnt_hi_u32_b32 v1, s43, v1
	v_cmp_eq_u32_e32 vcc, 0, v1
	s_waitcnt vmcnt(0) lgkmcnt(0)
	buffer_wbinvl1_vol
	s_and_saveexec_b64 s[40:41], vcc
	s_cbranch_execz .LBB14_254
; %bb.253:                              ;   in Loop: Header=BB14_173 Depth=2
	s_bcnt1_i32_b64 vcc_lo, s[42:43]
	v_mov_b32_e32 v40, vcc_lo
	ds_add_u64 v0, v[40:41]
	s_trap 2
.LBB14_254:                             ;   in Loop: Header=BB14_173 Depth=2
	s_or_b64 exec, exec, s[40:41]
	s_trap 2
	ds_read_b64 v[6:7], v0
	v_accvgpr_read_b32 v8, a22
	v_add_co_u32_e32 v52, vcc, v52, v8
	v_accvgpr_read_b32 v1, a11
	v_addc_co_u32_e32 v53, vcc, v53, v1, vcc
	s_waitcnt lgkmcnt(0)
	v_cmp_lt_u64_e32 vcc, v[6:7], v[52:53]
	s_and_saveexec_b64 s[40:41], vcc
	s_cbranch_execz .LBB14_263
; %bb.255:                              ;   in Loop: Header=BB14_173 Depth=2
	s_mov_b32 s56, 0
	s_mov_b64 s[42:43], 0
                                        ; implicit-def: $sgpr44_sgpr45
                                        ; implicit-def: $sgpr46_sgpr47
	s_branch .LBB14_257
.LBB14_256:                             ;   in Loop: Header=BB14_257 Depth=3
	s_or_b64 exec, exec, s[50:51]
	s_and_b64 vcc, exec, vcc
	s_or_b64 s[42:43], vcc, s[42:43]
	s_andn2_b64 vcc, s[44:45], exec
	s_and_b64 s[44:45], s[46:47], exec
	s_or_b64 s[44:45], vcc, s[44:45]
	s_andn2_b64 exec, exec, s[42:43]
	s_cbranch_execz .LBB14_261
.LBB14_257:                             ;   Parent Loop BB14_55 Depth=1
                                        ;     Parent Loop BB14_173 Depth=2
                                        ; =>    This Inner Loop Header: Depth=3
	s_add_i32 s56, s56, 1
	s_cmpk_lg_i32 s56, 0x2710
	s_cselect_b64 s[48:49], -1, 0
	s_and_b64 vcc, exec, s[48:49]
                                        ; implicit-def: $sgpr50_sgpr51
	s_cbranch_vccnz .LBB14_259
; %bb.258:                              ;   in Loop: Header=BB14_257 Depth=3
	s_trap 2
	ds_read_b64 v[6:7], v0
	s_andn2_b64 s[48:49], s[48:49], exec
	s_mov_b32 s56, 0
	s_mov_b64 s[50:51], -1
	s_waitcnt lgkmcnt(0)
	flat_load_dword v1, v[6:7] glc
	s_waitcnt vmcnt(0) lgkmcnt(0)
	buffer_invl2
	buffer_wbinvl1_vol
	v_cmp_eq_u32_e32 vcc, 0, v1
	s_and_b64 vcc, vcc, exec
	s_or_b64 s[48:49], s[48:49], vcc
.LBB14_259:                             ;   in Loop: Header=BB14_257 Depth=3
	s_andn2_b64 s[46:47], s[46:47], exec
	s_and_b64 s[50:51], s[50:51], exec
	s_mov_b64 vcc, -1
	s_or_b64 s[46:47], s[46:47], s[50:51]
	s_and_saveexec_b64 s[50:51], s[48:49]
	s_cbranch_execz .LBB14_256
; %bb.260:                              ;   in Loop: Header=BB14_257 Depth=3
	s_sleep 1
	s_trap 2
	ds_read_b64 v[6:7], v0
	s_andn2_b64 s[46:47], s[46:47], exec
	s_waitcnt lgkmcnt(0)
	v_cmp_ge_u64_e32 vcc, v[6:7], v[52:53]
	s_orn2_b64 vcc, vcc, exec
	s_branch .LBB14_256
.LBB14_261:                             ;   in Loop: Header=BB14_173 Depth=2
	s_or_b64 exec, exec, s[42:43]
	s_and_saveexec_b64 vcc, s[44:45]
	s_xor_b64 vcc, exec, vcc
	s_cbranch_execz .LBB14_263
; %bb.262:                              ;   in Loop: Header=BB14_173 Depth=2
	v_mov_b32_e32 v1, 1
	ds_write_b32 v0, v1
	s_trap 2
.LBB14_263:                             ;   in Loop: Header=BB14_173 Depth=2
	s_or_b64 exec, exec, s[40:41]
	;;#ASMSTART
	s_wakeup
	;;#ASMEND
.LBB14_264:                             ;   in Loop: Header=BB14_173 Depth=2
	s_or_b64 exec, exec, s[38:39]
.LBB14_265:                             ;   in Loop: Header=BB14_173 Depth=2
	s_andn2_saveexec_b64 vcc, s[36:37]
	s_cbranch_execz .LBB14_267
; %bb.266:                              ;   in Loop: Header=BB14_173 Depth=2
	s_waitcnt vmcnt(0) lgkmcnt(0)
	buffer_wbinvl1_vol
	s_barrier
.LBB14_267:                             ;   in Loop: Header=BB14_173 Depth=2
	s_or_b64 exec, exec, vcc
	s_or_b64 exec, exec, s[18:19]
	s_and_saveexec_b64 s[18:19], s[14:15]
	s_cbranch_execnz .LBB14_178
	s_branch .LBB14_179
.LBB14_268:                             ;   in Loop: Header=BB14_55 Depth=1
	s_waitcnt vmcnt(0) lgkmcnt(0)
	v_mov_b32_e32 v6, v21
.LBB14_269:                             ;   in Loop: Header=BB14_55 Depth=1
	v_pk_mov_b32 v[16:17], v[46:47], v[46:47] op_sel:[0,1]
	v_cmp_lt_i32_e32 vcc, 0, v6
	s_mov_b64 s[18:19], exec
	s_and_b64 s[16:17], s[18:19], vcc
	v_accvgpr_read_b32 v46, a24
	v_accvgpr_read_b32 v47, a26
	s_mov_b64 exec, s[16:17]
	s_cbranch_execnz .LBB14_272
; %bb.270:                              ;   in Loop: Header=BB14_55 Depth=1
	s_or_b64 exec, exec, s[18:19]
	s_and_saveexec_b64 s[16:17], s[10:11]
	s_cbranch_execnz .LBB14_305
.LBB14_271:                             ;   in Loop: Header=BB14_55 Depth=1
	s_or_b64 exec, exec, s[16:17]
	s_and_saveexec_b64 s[16:17], s[14:15]
	s_cbranch_execz .LBB14_54
	s_branch .LBB14_323
.LBB14_272:                             ;   in Loop: Header=BB14_55 Depth=1
	flat_load_dword v11, v[22:23] offset:4
	v_accvgpr_read_b32 v15, a9
	v_and_b32_e32 v8, 7, v34
	v_accvgpr_read_b32 v12, a6
	v_accvgpr_read_b32 v0, a36
	v_mul_lo_u32 v8, v8, v10
	v_accvgpr_read_b32 v13, a7
	v_accvgpr_read_b32 v1, a37
	v_add_co_u32_e32 v0, vcc, v12, v0
	v_ashrrev_i32_e32 v9, 31, v8
	v_addc_co_u32_e32 v1, vcc, v13, v1, vcc
	v_lshlrev_b64 v[8:9], 4, v[8:9]
	v_add_co_u32_e32 v8, vcc, v32, v8
	v_accvgpr_read_b32 v13, a1
	v_addc_co_u32_e32 v9, vcc, v33, v9, vcc
	v_add_u32_e32 v7, 1, v34
	s_mov_b64 s[36:37], 0
	v_mov_b32_e32 v18, v26
	v_accvgpr_read_b32 v14, a8
	s_waitcnt vmcnt(0) lgkmcnt(0)
	v_ashrrev_i32_e32 v12, 31, v11
	v_mul_lo_u32 v13, v13, v11
	v_mad_u64_u32 v[0:1], s[16:17], v62, v11, v[0:1]
	v_mul_lo_u32 v11, v62, v12
	v_add3_u32 v1, v13, v1, v11
	v_add_co_u32_e32 v0, vcc, v0, v46
	v_accvgpr_read_b32 v11, a19
	v_addc_co_u32_e32 v1, vcc, v1, v11, vcc
	s_branch .LBB14_274
.LBB14_273:                             ;   in Loop: Header=BB14_274 Depth=2
	v_add_co_u32_e32 v0, vcc, v0, v56
	v_addc_co_u32_e32 v1, vcc, v1, v57, vcc
	v_sub_u32_e32 v6, v6, v56
	v_cmp_gt_i32_e32 vcc, 1, v6
	s_or_b64 s[36:37], vcc, s[36:37]
	v_add_u32_e32 v18, v18, v20
	s_andn2_b64 exec, exec, s[36:37]
	s_cbranch_execz .LBB14_304
.LBB14_274:                             ;   Parent Loop BB14_55 Depth=1
                                        ; =>  This Loop Header: Depth=2
                                        ;       Child Loop BB14_278 Depth 3
	v_ashrrev_i32_e32 v19, 31, v18
	v_lshlrev_b64 v[12:13], 4, v[18:19]
	v_add_co_u32_e32 v30, vcc, v8, v12
	v_addc_co_u32_e32 v31, vcc, v9, v13, vcc
	global_load_dwordx4 v[12:15], v[30:31], off glc slc
	v_cmp_eq_u32_e32 vcc, 0, v27
	s_and_saveexec_b64 s[38:39], vcc
	s_cbranch_execz .LBB14_286
; %bb.275:                              ;   in Loop: Header=BB14_274 Depth=2
	s_waitcnt vmcnt(0)
	v_cmp_ne_u32_e32 vcc, v7, v13
	v_cmp_ne_u32_e64 s[16:17], v7, v15
	s_or_b64 s[16:17], vcc, s[16:17]
	v_mov_b32_e32 v27, 0
	s_and_saveexec_b64 s[40:41], s[16:17]
	s_cbranch_execz .LBB14_285
; %bb.276:                              ;   in Loop: Header=BB14_274 Depth=2
	s_mov_b32 s46, 1
	s_mov_b64 s[42:43], 0
	v_mov_b32_e32 v27, 0
	s_branch .LBB14_278
.LBB14_277:                             ;   in Loop: Header=BB14_278 Depth=3
	s_or_b64 exec, exec, s[44:45]
	s_and_b64 s[16:17], exec, s[16:17]
	s_or_b64 s[42:43], s[16:17], s[42:43]
	s_andn2_b64 exec, exec, s[42:43]
	s_cbranch_execz .LBB14_284
.LBB14_278:                             ;   Parent Loop BB14_55 Depth=1
                                        ;     Parent Loop BB14_274 Depth=2
                                        ; =>    This Inner Loop Header: Depth=3
	global_load_dwordx4 v[12:15], v[30:31], off glc slc
	s_add_i32 s46, s46, 1
	s_cmpk_lg_i32 s46, 0x2710
	s_cbranch_scc1 .LBB14_282
; %bb.279:                              ;   in Loop: Header=BB14_278 Depth=3
	s_trap 2
	ds_read_b64 v[48:49], v0
	s_waitcnt vmcnt(0) lgkmcnt(0)
	flat_load_dword v11, v[48:49] glc
	s_waitcnt vmcnt(0) lgkmcnt(0)
	buffer_invl2
	buffer_wbinvl1_vol
	v_cmp_ne_u32_e32 vcc, 0, v11
	s_and_saveexec_b64 s[16:17], vcc
	s_cbranch_execz .LBB14_281
; %bb.280:                              ;   in Loop: Header=BB14_278 Depth=3
	v_mov_b32_e32 v27, 1
	ds_write_b32 v0, v11
	s_trap 2
.LBB14_281:                             ;   in Loop: Header=BB14_278 Depth=3
	s_or_b64 exec, exec, s[16:17]
	s_mov_b32 s46, 0
	v_mov_b32_e32 v11, v27
	v_cmp_eq_u32_e32 vcc, 0, v11
	s_mov_b64 s[16:17], -1
	s_and_saveexec_b64 s[44:45], vcc
	s_cbranch_execz .LBB14_277
	s_branch .LBB14_283
.LBB14_282:                             ;   in Loop: Header=BB14_278 Depth=3
	v_mov_b32_e32 v11, 0
	v_cmp_eq_u32_e32 vcc, 0, v11
	s_mov_b64 s[16:17], -1
	s_and_saveexec_b64 s[44:45], vcc
	s_cbranch_execz .LBB14_277
.LBB14_283:                             ;   in Loop: Header=BB14_278 Depth=3
	s_waitcnt vmcnt(0)
	v_cmp_eq_u32_e32 vcc, v7, v13
	v_cmp_eq_u32_e64 s[16:17], v7, v15
	s_and_b64 s[16:17], vcc, s[16:17]
	s_orn2_b64 s[16:17], s[16:17], exec
	s_branch .LBB14_277
.LBB14_284:                             ;   in Loop: Header=BB14_274 Depth=2
	s_or_b64 exec, exec, s[42:43]
.LBB14_285:                             ;   in Loop: Header=BB14_274 Depth=2
	s_or_b64 exec, exec, s[40:41]
.LBB14_286:                             ;   in Loop: Header=BB14_274 Depth=2
	s_or_b64 exec, exec, s[38:39]
	v_cmp_lt_u32_e32 vcc, 7, v6
	v_cndmask_b32_e64 v11, 0, 1, vcc
	;;#ASMSTART
	;;#ASMEND
	v_cmp_ne_u32_e64 s[16:17], 0, v11
	s_waitcnt vmcnt(0)
	v_mov_b32_e32 v13, v14
	s_cmp_lg_u64 s[16:17], exec
	s_mov_b64 s[16:17], -1
	s_cbranch_scc0 .LBB14_296
; %bb.287:                              ;   in Loop: Header=BB14_274 Depth=2
	v_cmp_ne_u32_e64 s[16:17], 1, v6
	flat_store_byte v[0:1], v12
	s_and_saveexec_b64 s[38:39], s[16:17]
	s_cbranch_execnz .LBB14_298
; %bb.288:                              ;   in Loop: Header=BB14_274 Depth=2
	s_or_b64 exec, exec, s[38:39]
	v_cmp_lt_u32_e64 s[16:17], 2, v6
	s_and_saveexec_b64 s[38:39], s[16:17]
	s_cbranch_execnz .LBB14_299
.LBB14_289:                             ;   in Loop: Header=BB14_274 Depth=2
	s_or_b64 exec, exec, s[38:39]
	v_cmp_lt_u32_e64 s[16:17], 3, v6
	s_and_saveexec_b64 s[38:39], s[16:17]
	s_cbranch_execnz .LBB14_300
.LBB14_290:                             ;   in Loop: Header=BB14_274 Depth=2
	s_or_b64 exec, exec, s[38:39]
	v_cmp_lt_u32_e64 s[16:17], 4, v6
	s_and_saveexec_b64 s[38:39], s[16:17]
	s_cbranch_execnz .LBB14_301
.LBB14_291:                             ;   in Loop: Header=BB14_274 Depth=2
	s_or_b64 exec, exec, s[38:39]
	v_cmp_lt_u32_e64 s[16:17], 5, v6
	s_and_saveexec_b64 s[38:39], s[16:17]
	s_cbranch_execnz .LBB14_302
.LBB14_292:                             ;   in Loop: Header=BB14_274 Depth=2
	s_or_b64 exec, exec, s[38:39]
	v_cmp_lt_u32_e64 s[16:17], 6, v6
	s_and_saveexec_b64 s[38:39], s[16:17]
	s_cbranch_execnz .LBB14_303
.LBB14_293:                             ;   in Loop: Header=BB14_274 Depth=2
	s_or_b64 exec, exec, s[38:39]
	s_and_saveexec_b64 s[16:17], vcc
	s_cbranch_execz .LBB14_295
.LBB14_294:                             ;   in Loop: Header=BB14_274 Depth=2
	v_lshrrev_b32_e32 v11, 24, v13
	flat_store_byte v[0:1], v11 offset:7
.LBB14_295:                             ;   in Loop: Header=BB14_274 Depth=2
	s_or_b64 exec, exec, s[16:17]
	s_mov_b64 s[16:17], 0
.LBB14_296:                             ;   in Loop: Header=BB14_274 Depth=2
	s_and_b64 vcc, exec, s[16:17]
	s_cbranch_vccz .LBB14_273
; %bb.297:                              ;   in Loop: Header=BB14_274 Depth=2
	global_store_dwordx2 v[0:1], v[12:13], off
	s_branch .LBB14_273
.LBB14_298:                             ;   in Loop: Header=BB14_274 Depth=2
	v_lshrrev_b32_e32 v11, 8, v12
	flat_store_byte v[0:1], v11 offset:1
	s_or_b64 exec, exec, s[38:39]
	v_cmp_lt_u32_e64 s[16:17], 2, v6
	s_and_saveexec_b64 s[38:39], s[16:17]
	s_cbranch_execz .LBB14_289
.LBB14_299:                             ;   in Loop: Header=BB14_274 Depth=2
	flat_store_byte_d16_hi v[0:1], v12 offset:2
	s_or_b64 exec, exec, s[38:39]
	v_cmp_lt_u32_e64 s[16:17], 3, v6
	s_and_saveexec_b64 s[38:39], s[16:17]
	s_cbranch_execz .LBB14_290
.LBB14_300:                             ;   in Loop: Header=BB14_274 Depth=2
	v_lshrrev_b32_e32 v11, 24, v12
	flat_store_byte v[0:1], v11 offset:3
	s_or_b64 exec, exec, s[38:39]
	v_cmp_lt_u32_e64 s[16:17], 4, v6
	s_and_saveexec_b64 s[38:39], s[16:17]
	s_cbranch_execz .LBB14_291
.LBB14_301:                             ;   in Loop: Header=BB14_274 Depth=2
	flat_store_byte v[0:1], v14 offset:4
	s_or_b64 exec, exec, s[38:39]
	v_cmp_lt_u32_e64 s[16:17], 5, v6
	s_and_saveexec_b64 s[38:39], s[16:17]
	s_cbranch_execz .LBB14_292
.LBB14_302:                             ;   in Loop: Header=BB14_274 Depth=2
	v_lshrrev_b32_e32 v11, 8, v13
	flat_store_byte v[0:1], v11 offset:5
	s_or_b64 exec, exec, s[38:39]
	v_cmp_lt_u32_e64 s[16:17], 6, v6
	s_and_saveexec_b64 s[38:39], s[16:17]
	s_cbranch_execz .LBB14_293
.LBB14_303:                             ;   in Loop: Header=BB14_274 Depth=2
	flat_store_byte_d16_hi v[0:1], v13 offset:6
	s_or_b64 exec, exec, s[38:39]
	s_and_saveexec_b64 s[16:17], vcc
	s_cbranch_execnz .LBB14_294
	s_branch .LBB14_295
.LBB14_304:                             ;   in Loop: Header=BB14_55 Depth=1
	s_or_b64 exec, exec, s[36:37]
	s_or_b64 exec, exec, s[18:19]
	s_and_saveexec_b64 s[16:17], s[10:11]
	s_cbranch_execz .LBB14_271
.LBB14_305:                             ;   in Loop: Header=BB14_55 Depth=1
	s_and_saveexec_b64 s[18:19], s[28:29]
	s_xor_b64 s[18:19], exec, s[18:19]
	s_cbranch_execz .LBB14_320
; %bb.306:                              ;   in Loop: Header=BB14_55 Depth=1
	s_and_saveexec_b64 s[36:37], s[12:13]
	s_cbranch_execz .LBB14_319
; %bb.307:                              ;   in Loop: Header=BB14_55 Depth=1
	s_mov_b64 s[40:41], exec
	v_mbcnt_lo_u32_b32 v0, s40, 0
	v_mbcnt_hi_u32_b32 v0, s41, v0
	v_cmp_eq_u32_e32 vcc, 0, v0
	s_waitcnt vmcnt(0) lgkmcnt(0)
	buffer_wbinvl1_vol
	s_and_saveexec_b64 s[38:39], vcc
	s_cbranch_execz .LBB14_309
; %bb.308:                              ;   in Loop: Header=BB14_55 Depth=1
	s_bcnt1_i32_b64 vcc_lo, s[40:41]
	v_mov_b32_e32 v40, vcc_lo
	ds_add_u64 v0, v[40:41]
	s_trap 2
.LBB14_309:                             ;   in Loop: Header=BB14_55 Depth=1
	s_or_b64 exec, exec, s[38:39]
	s_trap 2
	ds_read_b64 v[0:1], v0
	v_accvgpr_read_b32 v6, a22
	v_add_co_u32_e32 v52, vcc, v52, v6
	v_accvgpr_read_b32 v7, a11
	v_addc_co_u32_e32 v53, vcc, v53, v7, vcc
	s_waitcnt lgkmcnt(0)
	v_cmp_lt_u64_e32 vcc, v[0:1], v[52:53]
	s_and_saveexec_b64 s[38:39], vcc
	s_cbranch_execz .LBB14_318
; %bb.310:                              ;   in Loop: Header=BB14_55 Depth=1
	s_mov_b32 s50, 0
	s_mov_b64 s[40:41], 0
                                        ; implicit-def: $sgpr42_sgpr43
                                        ; implicit-def: $sgpr44_sgpr45
	s_branch .LBB14_312
.LBB14_311:                             ;   in Loop: Header=BB14_312 Depth=2
	s_or_b64 exec, exec, s[48:49]
	s_and_b64 vcc, exec, vcc
	s_or_b64 s[40:41], vcc, s[40:41]
	s_andn2_b64 vcc, s[42:43], exec
	s_and_b64 s[42:43], s[44:45], exec
	s_or_b64 s[42:43], vcc, s[42:43]
	s_andn2_b64 exec, exec, s[40:41]
	s_cbranch_execz .LBB14_316
.LBB14_312:                             ;   Parent Loop BB14_55 Depth=1
                                        ; =>  This Inner Loop Header: Depth=2
	s_add_i32 s50, s50, 1
	s_cmpk_lg_i32 s50, 0x2710
	s_cselect_b64 s[46:47], -1, 0
	s_and_b64 vcc, exec, s[46:47]
                                        ; implicit-def: $sgpr48_sgpr49
	s_cbranch_vccnz .LBB14_314
; %bb.313:                              ;   in Loop: Header=BB14_312 Depth=2
	s_trap 2
	ds_read_b64 v[0:1], v0
	s_andn2_b64 s[46:47], s[46:47], exec
	s_mov_b32 s50, 0
	s_mov_b64 s[48:49], -1
	s_waitcnt lgkmcnt(0)
	flat_load_dword v0, v[0:1] glc
	s_waitcnt vmcnt(0) lgkmcnt(0)
	buffer_invl2
	buffer_wbinvl1_vol
	v_cmp_eq_u32_e32 vcc, 0, v0
	s_and_b64 vcc, vcc, exec
	s_or_b64 s[46:47], s[46:47], vcc
.LBB14_314:                             ;   in Loop: Header=BB14_312 Depth=2
	s_andn2_b64 s[44:45], s[44:45], exec
	s_and_b64 s[48:49], s[48:49], exec
	s_mov_b64 vcc, -1
	s_or_b64 s[44:45], s[44:45], s[48:49]
	s_and_saveexec_b64 s[48:49], s[46:47]
	s_cbranch_execz .LBB14_311
; %bb.315:                              ;   in Loop: Header=BB14_312 Depth=2
	s_sleep 1
	s_trap 2
	ds_read_b64 v[0:1], v0
	s_andn2_b64 s[44:45], s[44:45], exec
	s_waitcnt lgkmcnt(0)
	v_cmp_ge_u64_e32 vcc, v[0:1], v[52:53]
	s_orn2_b64 vcc, vcc, exec
	s_branch .LBB14_311
.LBB14_316:                             ;   in Loop: Header=BB14_55 Depth=1
	s_or_b64 exec, exec, s[40:41]
	s_and_saveexec_b64 vcc, s[42:43]
	s_xor_b64 vcc, exec, vcc
	s_cbranch_execz .LBB14_318
; %bb.317:                              ;   in Loop: Header=BB14_55 Depth=1
	v_mov_b32_e32 v0, 1
	ds_write_b32 v0, v0
	s_trap 2
.LBB14_318:                             ;   in Loop: Header=BB14_55 Depth=1
	s_or_b64 exec, exec, s[38:39]
	;;#ASMSTART
	s_wakeup
	;;#ASMEND
.LBB14_319:                             ;   in Loop: Header=BB14_55 Depth=1
	s_or_b64 exec, exec, s[36:37]
.LBB14_320:                             ;   in Loop: Header=BB14_55 Depth=1
	s_andn2_saveexec_b64 s[18:19], s[18:19]
	s_cbranch_execz .LBB14_322
; %bb.321:                              ;   in Loop: Header=BB14_55 Depth=1
	s_waitcnt vmcnt(0) lgkmcnt(0)
	buffer_wbinvl1_vol
	s_barrier
.LBB14_322:                             ;   in Loop: Header=BB14_55 Depth=1
	s_or_b64 exec, exec, s[18:19]
	s_or_b64 exec, exec, s[16:17]
	s_and_saveexec_b64 s[16:17], s[14:15]
	s_cbranch_execz .LBB14_54
.LBB14_323:                             ;   in Loop: Header=BB14_55 Depth=1
	v_add_co_u32_e32 v38, vcc, 1, v38
	v_accvgpr_read_b32 v0, a16
	v_addc_co_u32_e32 v39, vcc, 0, v39, vcc
	v_accvgpr_read_b32 v1, a17
	flat_store_dwordx2 v[0:1], v[38:39]
	s_branch .LBB14_54
.LBB14_324:
	s_or_b64 exec, exec, s[26:27]
	v_accvgpr_read_b32 v8, a12
	v_accvgpr_read_b32 v19, a15
	v_accvgpr_read_b32 v11, a0
	v_accvgpr_read_b32 v14, a10
	v_accvgpr_read_b32 v9, a13
	v_accvgpr_read_b32 v18, a14
.LBB14_325:
	s_or_b64 exec, exec, s[24:25]
; %bb.326:
	s_and_saveexec_b64 s[6:7], s[22:23]
	s_cbranch_execnz .LBB14_329
; %bb.327:
	s_or_b64 exec, exec, s[6:7]
	s_and_saveexec_b64 s[6:7], s[4:5]
	s_cbranch_execnz .LBB14_330
.LBB14_328:
	s_or_b64 exec, exec, s[6:7]
	v_cmp_ne_u32_e32 vcc, 64, v20
	s_and_saveexec_b64 s[4:5], vcc
	s_cbranch_execnz .LBB14_331
	s_branch .LBB14_348
.LBB14_329:
	s_waitcnt vmcnt(0) lgkmcnt(0)
	flat_store_dwordx2 v[18:19], v[38:39] offset:104
	s_or_b64 exec, exec, s[6:7]
	s_and_saveexec_b64 s[6:7], s[4:5]
	s_cbranch_execz .LBB14_328
.LBB14_330:
	s_waitcnt vmcnt(0) lgkmcnt(0)
	flat_store_dwordx2 v[8:9], v[4:5] offset:104
	s_or_b64 exec, exec, s[6:7]
	v_cmp_ne_u32_e32 vcc, 64, v20
	s_and_saveexec_b64 s[4:5], vcc
	s_cbranch_execz .LBB14_348
.LBB14_331:
	v_cmp_ne_u32_sdwa s[6:7], v14, v20 src0_sel:WORD_0 src1_sel:DWORD
	s_and_saveexec_b64 s[8:9], s[6:7]
	s_xor_b64 s[6:7], exec, s[8:9]
	s_cbranch_execz .LBB14_346
; %bb.332:
	v_and_b32_e32 v0, 63, v11
	v_cmp_eq_u32_e32 vcc, 0, v0
	s_and_saveexec_b64 s[8:9], vcc
	s_cbranch_execz .LBB14_345
; %bb.333:
	s_mov_b64 s[12:13], exec
	v_mbcnt_lo_u32_b32 v0, s12, 0
	v_mbcnt_hi_u32_b32 v0, s13, v0
	v_cmp_eq_u32_e32 vcc, 0, v0
	s_waitcnt vmcnt(0) lgkmcnt(0)
	buffer_wbinvl1_vol
	s_and_saveexec_b64 s[10:11], vcc
	s_cbranch_execz .LBB14_335
; %bb.334:
	s_bcnt1_i32_b64 s12, s[12:13]
	v_mov_b32_e32 v0, s12
	v_mov_b32_e32 v1, 0
	ds_add_u64 v0, v[0:1]
	s_trap 2
.LBB14_335:
	s_or_b64 exec, exec, s[10:11]
	v_ashrrev_i32_e32 v0, 31, v20
	v_lshrrev_b32_e32 v0, 26, v0
	v_add_u32_e32 v0, v20, v0
	v_ashrrev_i32_e32 v0, 6, v0
	s_trap 2
	ds_read_b64 v[2:3], v0
	v_ashrrev_i32_e32 v1, 31, v0
	v_add_co_u32_e32 v0, vcc, v52, v0
	v_addc_co_u32_e32 v1, vcc, v53, v1, vcc
	s_waitcnt lgkmcnt(0)
	v_cmp_lt_u64_e32 vcc, v[2:3], v[0:1]
	s_and_saveexec_b64 s[10:11], vcc
	s_cbranch_execz .LBB14_344
; %bb.336:
	s_mov_b32 s26, 0
	s_mov_b64 s[12:13], 0
                                        ; implicit-def: $sgpr14_sgpr15
                                        ; implicit-def: $sgpr16_sgpr17
	s_branch .LBB14_338
.LBB14_337:                             ;   in Loop: Header=BB14_338 Depth=1
	s_or_b64 exec, exec, s[24:25]
	s_and_b64 s[18:19], exec, s[22:23]
	s_or_b64 s[12:13], s[18:19], s[12:13]
	s_andn2_b64 s[14:15], s[14:15], exec
	s_and_b64 s[18:19], s[16:17], exec
	s_or_b64 s[14:15], s[14:15], s[18:19]
	s_andn2_b64 exec, exec, s[12:13]
	s_cbranch_execz .LBB14_342
.LBB14_338:                             ; =>This Inner Loop Header: Depth=1
	s_add_i32 s26, s26, 1
	s_cmpk_lg_i32 s26, 0x2710
	s_cselect_b64 s[18:19], -1, 0
	s_and_b64 vcc, exec, s[18:19]
                                        ; implicit-def: $sgpr24_sgpr25
	s_cbranch_vccnz .LBB14_340
; %bb.339:                              ;   in Loop: Header=BB14_338 Depth=1
	s_trap 2
	ds_read_b64 v[2:3], v0
	s_andn2_b64 s[18:19], s[18:19], exec
	s_mov_b32 s26, 0
	s_mov_b64 s[24:25], -1
	s_waitcnt lgkmcnt(0)
	flat_load_dword v2, v[2:3] glc
	s_waitcnt vmcnt(0) lgkmcnt(0)
	buffer_invl2
	buffer_wbinvl1_vol
	v_cmp_eq_u32_e32 vcc, 0, v2
	s_and_b64 s[22:23], vcc, exec
	s_or_b64 s[18:19], s[18:19], s[22:23]
.LBB14_340:                             ;   in Loop: Header=BB14_338 Depth=1
	s_andn2_b64 s[16:17], s[16:17], exec
	s_and_b64 s[24:25], s[24:25], exec
	s_mov_b64 s[22:23], -1
	s_or_b64 s[16:17], s[16:17], s[24:25]
	s_and_saveexec_b64 s[24:25], s[18:19]
	s_cbranch_execz .LBB14_337
; %bb.341:                              ;   in Loop: Header=BB14_338 Depth=1
	s_sleep 1
	s_trap 2
	ds_read_b64 v[2:3], v0
	s_andn2_b64 s[16:17], s[16:17], exec
	s_waitcnt lgkmcnt(0)
	v_cmp_ge_u64_e32 vcc, v[2:3], v[0:1]
	s_orn2_b64 s[22:23], vcc, exec
	s_branch .LBB14_337
.LBB14_342:
	s_or_b64 exec, exec, s[12:13]
	s_and_saveexec_b64 s[12:13], s[14:15]
	s_xor_b64 s[12:13], exec, s[12:13]
	s_cbranch_execz .LBB14_344
; %bb.343:
	v_mov_b32_e32 v0, 1
	ds_write_b32 v0, v0
	s_trap 2
.LBB14_344:
	s_or_b64 exec, exec, s[10:11]
	;;#ASMSTART
	s_wakeup
	;;#ASMEND
.LBB14_345:
	s_or_b64 exec, exec, s[8:9]
.LBB14_346:
	s_andn2_saveexec_b64 s[6:7], s[6:7]
	s_cbranch_execz .LBB14_348
; %bb.347:
	s_waitcnt vmcnt(0) lgkmcnt(0)
	buffer_wbinvl1_vol
	s_barrier
.LBB14_348:
	s_or_b64 exec, exec, s[4:5]
.LBB14_349:
	s_or_b64 exec, exec, s[20:21]
	buffer_load_dword a37, off, s[0:3], s32 ; 4-byte Folded Reload
	buffer_load_dword a36, off, s[0:3], s32 offset:4 ; 4-byte Folded Reload
	buffer_load_dword a35, off, s[0:3], s32 offset:8 ; 4-byte Folded Reload
	;; [unrolled: 1-line block ×20, first 2 shown]
	v_readlane_b32 s30, v63, 23
	v_readlane_b32 s31, v63, 24
	;; [unrolled: 1-line block ×25, first 2 shown]
	s_or_saveexec_b64 s[4:5], -1
	buffer_load_dword v63, off, s[0:3], s32 offset:84 ; 4-byte Folded Reload
	s_mov_b64 exec, s[4:5]
	s_waitcnt vmcnt(0) lgkmcnt(0)
	s_setpc_b64 s[30:31]
.Lfunc_end14:
	.size	_ZN12_GLOBAL__N_17runRingIa7FuncSumIaE7ProtoLLLi0ELi4ELi0ELb0EEEviiP15ncclDevWorkColl, .Lfunc_end14-_ZN12_GLOBAL__N_17runRingIa7FuncSumIaE7ProtoLLLi0ELi4ELi0ELb0EEEviiP15ncclDevWorkColl
                                        ; -- End function
	.section	.AMDGPU.csdata,"",@progbits
; Function info:
; codeLenInByte = 11848
; NumSgprs: 61
; NumVgprs: 64
; NumAgprs: 38
; TotalNumVgprs: 102
; ScratchSize: 92
; MemoryBound: 0
	.text
	.p2align	2                               ; -- Begin function _Z42ncclDevFunc_AllGather_RING_LL_Sum_i8_0_0_4v
	.type	_Z42ncclDevFunc_AllGather_RING_LL_Sum_i8_0_0_4v,@function
_Z42ncclDevFunc_AllGather_RING_LL_Sum_i8_0_0_4v: ; @_Z42ncclDevFunc_AllGather_RING_LL_Sum_i8_0_0_4v
; %bb.0:
	s_waitcnt vmcnt(0) expcnt(0) lgkmcnt(0)
	s_mov_b32 s4, s33
	s_mov_b32 s33, s32
	s_or_saveexec_b64 s[6:7], -1
	buffer_store_dword v43, off, s[0:3], s33 offset:16 ; 4-byte Folded Spill
	s_mov_b64 exec, s[6:7]
	v_writelane_b32 v43, s4, 33
	s_addk_i32 s32, 0x800
	buffer_store_dword v40, off, s[0:3], s33 offset:12 ; 4-byte Folded Spill
	buffer_store_dword v41, off, s[0:3], s33 offset:8 ; 4-byte Folded Spill
	;; [unrolled: 1-line block ×3, first 2 shown]
	buffer_store_dword v63, off, s[0:3], s33 ; 4-byte Folded Spill
	v_writelane_b32 v43, s34, 0
	v_writelane_b32 v43, s35, 1
	v_writelane_b32 v43, s36, 2
	v_writelane_b32 v43, s37, 3
	v_writelane_b32 v43, s38, 4
	v_writelane_b32 v43, s39, 5
	v_writelane_b32 v43, s40, 6
	v_writelane_b32 v43, s41, 7
	v_writelane_b32 v43, s42, 8
	v_writelane_b32 v43, s43, 9
	v_writelane_b32 v43, s44, 10
	v_writelane_b32 v43, s45, 11
	v_writelane_b32 v43, s46, 12
	v_writelane_b32 v43, s47, 13
	v_writelane_b32 v43, s48, 14
	v_writelane_b32 v43, s49, 15
	v_writelane_b32 v43, s50, 16
	v_writelane_b32 v43, s51, 17
	v_writelane_b32 v43, s52, 18
	v_writelane_b32 v43, s53, 19
	v_writelane_b32 v43, s54, 20
	v_writelane_b32 v43, s55, 21
	v_writelane_b32 v43, s56, 22
	v_writelane_b32 v43, s57, 23
	v_writelane_b32 v43, s58, 24
	v_writelane_b32 v43, s59, 25
	v_writelane_b32 v43, s60, 26
	v_writelane_b32 v43, s61, 27
	v_writelane_b32 v43, s62, 28
	v_writelane_b32 v43, s63, 29
	v_writelane_b32 v43, s64, 30
	v_writelane_b32 v43, s30, 31
	v_writelane_b32 v43, s31, 32
	s_trap 2
	ds_read_b32 v0, v0
	v_mov_b32_e32 v40, v31
	s_mov_b32 s57, s12
	s_mov_b64 s[58:59], s[8:9]
	s_waitcnt lgkmcnt(0)
	v_cmp_gt_i32_e32 vcc, 1, v0
	s_cbranch_vccnz .LBB15_8
; %bb.1:
	s_mov_b32 s64, 0
	v_and_b32_e32 v41, 0x3ff, v40
	s_mov_b64 s[60:61], src_shared_base
	v_mov_b32_e32 v42, 6
	s_branch .LBB15_3
.LBB15_2:                               ;   in Loop: Header=BB15_3 Depth=1
	s_or_b64 exec, exec, s[62:63]
	s_trap 2
	ds_read_b32 v0, v0
	s_add_i32 s64, s64, 1
	s_waitcnt lgkmcnt(0)
	v_cmp_lt_i32_e32 vcc, s64, v0
	s_cbranch_vccz .LBB15_8
.LBB15_3:                               ; =>This Inner Loop Header: Depth=1
	s_trap 2
	ds_read_b32 v0, v0
	s_cmp_eq_u32 s64, 0
	s_cbranch_scc1 .LBB15_6
; %bb.4:                                ;   in Loop: Header=BB15_3 Depth=1
	s_trap 2
	s_waitcnt lgkmcnt(0)
	ds_read_b32 v1, v0
	s_waitcnt lgkmcnt(0)
	v_xor_b32_e32 v1, v1, v0
	v_and_b32_e32 v1, 0xff0000, v1
	v_cmp_eq_u32_e32 vcc, 0, v1
	s_cbranch_vccnz .LBB15_6
; %bb.5:                                ;   in Loop: Header=BB15_3 Depth=1
	s_barrier
	ds_read_b32 v0, v0
.LBB15_6:                               ;   in Loop: Header=BB15_3 Depth=1
	s_waitcnt lgkmcnt(0)
	v_lshlrev_b32_sdwa v1, v42, v0 dst_sel:DWORD dst_unused:UNUSED_PAD src0_sel:DWORD src1_sel:BYTE_2
	v_cmp_lt_u32_e32 vcc, v41, v1
	s_and_saveexec_b64 s[62:63], vcc
	s_cbranch_execz .LBB15_2
; %bb.7:                                ;   in Loop: Header=BB15_3 Depth=1
	s_mov_b64 s[8:9], s[58:59]
	s_mov_b32 s12, s57
	v_mov_b32_e32 v31, v40
	v_mov_b32_e32 v0, v41
	;; [unrolled: 1-line block ×3, first 2 shown]
	s_getpc_b64 s[4:5]
	s_add_u32 s4, s4, _ZN12_GLOBAL__N_17runRingIa7FuncSumIaE7ProtoLLLi0ELi4ELi0ELb0EEEviiP15ncclDevWorkColl@rel32@lo+4
	s_addc_u32 s5, s5, _ZN12_GLOBAL__N_17runRingIa7FuncSumIaE7ProtoLLLi0ELi4ELi0ELb0EEEviiP15ncclDevWorkColl@rel32@hi+12
	s_swappc_b64 s[30:31], s[4:5]
	s_branch .LBB15_2
.LBB15_8:
	buffer_load_dword v63, off, s[0:3], s33 ; 4-byte Folded Reload
	buffer_load_dword v42, off, s[0:3], s33 offset:4 ; 4-byte Folded Reload
	buffer_load_dword v41, off, s[0:3], s33 offset:8 ; 4-byte Folded Reload
	;; [unrolled: 1-line block ×3, first 2 shown]
	v_readlane_b32 s30, v43, 31
	v_readlane_b32 s31, v43, 32
	v_readlane_b32 s64, v43, 30
	v_readlane_b32 s63, v43, 29
	v_readlane_b32 s62, v43, 28
	v_readlane_b32 s61, v43, 27
	v_readlane_b32 s60, v43, 26
	v_readlane_b32 s59, v43, 25
	v_readlane_b32 s58, v43, 24
	v_readlane_b32 s57, v43, 23
	v_readlane_b32 s56, v43, 22
	v_readlane_b32 s55, v43, 21
	v_readlane_b32 s54, v43, 20
	v_readlane_b32 s53, v43, 19
	v_readlane_b32 s52, v43, 18
	v_readlane_b32 s51, v43, 17
	v_readlane_b32 s50, v43, 16
	v_readlane_b32 s49, v43, 15
	v_readlane_b32 s48, v43, 14
	v_readlane_b32 s47, v43, 13
	v_readlane_b32 s46, v43, 12
	v_readlane_b32 s45, v43, 11
	v_readlane_b32 s44, v43, 10
	v_readlane_b32 s43, v43, 9
	v_readlane_b32 s42, v43, 8
	v_readlane_b32 s41, v43, 7
	v_readlane_b32 s40, v43, 6
	v_readlane_b32 s39, v43, 5
	v_readlane_b32 s38, v43, 4
	v_readlane_b32 s37, v43, 3
	v_readlane_b32 s36, v43, 2
	v_readlane_b32 s35, v43, 1
	v_readlane_b32 s34, v43, 0
	v_readlane_b32 s4, v43, 33
	s_or_saveexec_b64 s[6:7], -1
	buffer_load_dword v43, off, s[0:3], s33 offset:16 ; 4-byte Folded Reload
	s_mov_b64 exec, s[6:7]
	s_addk_i32 s32, 0xf800
	s_mov_b32 s33, s4
	s_waitcnt vmcnt(0)
	s_setpc_b64 s[30:31]
.Lfunc_end15:
	.size	_Z42ncclDevFunc_AllGather_RING_LL_Sum_i8_0_0_4v, .Lfunc_end15-_Z42ncclDevFunc_AllGather_RING_LL_Sum_i8_0_0_4v
                                        ; -- End function
	.section	.AMDGPU.csdata,"",@progbits
; Function info:
; codeLenInByte = 908
; NumSgprs: 69
; NumVgprs: 64
; NumAgprs: 38
; TotalNumVgprs: 102
; ScratchSize: 124
; MemoryBound: 0
	.text
	.p2align	2                               ; -- Begin function _ZN12_GLOBAL__N_17runRingIa7FuncSumIaE11ProtoSimpleILi2ELi2ELi0ELi4ELi0ELi0EELi0ELi4ELi0ELb0EEEviiP15ncclDevWorkColl
	.type	_ZN12_GLOBAL__N_17runRingIa7FuncSumIaE11ProtoSimpleILi2ELi2ELi0ELi4ELi0ELi0EELi0ELi4ELi0ELb0EEEviiP15ncclDevWorkColl,@function
_ZN12_GLOBAL__N_17runRingIa7FuncSumIaE11ProtoSimpleILi2ELi2ELi0ELi4ELi0ELi0EELi0ELi4ELi0ELb0EEEviiP15ncclDevWorkColl: ; @_ZN12_GLOBAL__N_17runRingIa7FuncSumIaE11ProtoSimpleILi2ELi2ELi0ELi4ELi0ELi0EELi0ELi4ELi0ELb0EEEviiP15ncclDevWorkColl
; %bb.0:
	s_waitcnt vmcnt(0) expcnt(0) lgkmcnt(0)
	s_mov_b32 s4, s33
	s_mov_b32 s33, s32
	s_or_saveexec_b64 s[6:7], -1
	buffer_store_dword v63, off, s[0:3], s33 offset:160 ; 4-byte Folded Spill
	s_mov_b64 exec, s[6:7]
	v_writelane_b32 v63, s4, 47
	s_addk_i32 s32, 0x2c00
	buffer_store_dword v40, off, s[0:3], s33 offset:148 ; 4-byte Folded Spill
	buffer_store_dword v41, off, s[0:3], s33 offset:144 ; 4-byte Folded Spill
	buffer_store_dword v42, off, s[0:3], s33 offset:140 ; 4-byte Folded Spill
	buffer_store_dword v43, off, s[0:3], s33 offset:136 ; 4-byte Folded Spill
	buffer_store_dword v44, off, s[0:3], s33 offset:132 ; 4-byte Folded Spill
	buffer_store_dword v45, off, s[0:3], s33 offset:128 ; 4-byte Folded Spill
	buffer_store_dword v46, off, s[0:3], s33 offset:124 ; 4-byte Folded Spill
	buffer_store_dword v47, off, s[0:3], s33 offset:120 ; 4-byte Folded Spill
	buffer_store_dword v56, off, s[0:3], s33 offset:116 ; 4-byte Folded Spill
	buffer_store_dword v57, off, s[0:3], s33 offset:112 ; 4-byte Folded Spill
	buffer_store_dword v58, off, s[0:3], s33 offset:108 ; 4-byte Folded Spill
	buffer_store_dword v59, off, s[0:3], s33 offset:104 ; 4-byte Folded Spill
	buffer_store_dword v60, off, s[0:3], s33 offset:100 ; 4-byte Folded Spill
	buffer_store_dword v61, off, s[0:3], s33 offset:96 ; 4-byte Folded Spill
	buffer_store_dword v62, off, s[0:3], s33 offset:92 ; 4-byte Folded Spill
	buffer_store_dword a32, off, s[0:3], s33 offset:88 ; 4-byte Folded Spill
	buffer_store_dword a33, off, s[0:3], s33 offset:84 ; 4-byte Folded Spill
	buffer_store_dword a34, off, s[0:3], s33 offset:80 ; 4-byte Folded Spill
	buffer_store_dword a35, off, s[0:3], s33 offset:76 ; 4-byte Folded Spill
	buffer_store_dword a36, off, s[0:3], s33 offset:72 ; 4-byte Folded Spill
	buffer_store_dword a37, off, s[0:3], s33 offset:68 ; 4-byte Folded Spill
	buffer_store_dword a38, off, s[0:3], s33 offset:64 ; 4-byte Folded Spill
	buffer_store_dword a39, off, s[0:3], s33 offset:60 ; 4-byte Folded Spill
	buffer_store_dword a40, off, s[0:3], s33 offset:56 ; 4-byte Folded Spill
	buffer_store_dword a41, off, s[0:3], s33 offset:52 ; 4-byte Folded Spill
	buffer_store_dword a42, off, s[0:3], s33 offset:48 ; 4-byte Folded Spill
	buffer_store_dword a43, off, s[0:3], s33 offset:44 ; 4-byte Folded Spill
	buffer_store_dword a44, off, s[0:3], s33 offset:40 ; 4-byte Folded Spill
	buffer_store_dword a45, off, s[0:3], s33 offset:36 ; 4-byte Folded Spill
	buffer_store_dword a46, off, s[0:3], s33 offset:32 ; 4-byte Folded Spill
	buffer_store_dword a47, off, s[0:3], s33 offset:28 ; 4-byte Folded Spill
	buffer_store_dword a48, off, s[0:3], s33 offset:24 ; 4-byte Folded Spill
	buffer_store_dword a49, off, s[0:3], s33 offset:20 ; 4-byte Folded Spill
	buffer_store_dword a50, off, s[0:3], s33 offset:16 ; 4-byte Folded Spill
	buffer_store_dword a52, off, s[0:3], s33 offset:12 ; 4-byte Folded Spill
	buffer_store_dword a53, off, s[0:3], s33 offset:8 ; 4-byte Folded Spill
	buffer_store_dword a54, off, s[0:3], s33 offset:4 ; 4-byte Folded Spill
	buffer_store_dword a55, off, s[0:3], s33 ; 4-byte Folded Spill
	v_writelane_b32 v63, s34, 0
	v_writelane_b32 v63, s35, 1
	;; [unrolled: 1-line block ×47, first 2 shown]
	s_trap 2
	flat_load_dword v5, v[2:3]
	flat_load_dwordx4 v[16:19], v[2:3] offset:72
	flat_load_dwordx2 v[12:13], v[2:3] offset:88
	v_mov_b32_e32 v20, v1
	ds_read_b32 v1, v0
	ds_read_b64 a[6:7], v0
	v_mov_b32_e32 v61, v0
                                        ; implicit-def: $agpr8_agpr9
	s_waitcnt lgkmcnt(0)
	v_readfirstlane_b32 s70, v1
	s_waitcnt vmcnt(0)
	v_not_b32_sdwa v4, v5 dst_sel:DWORD dst_unused:UNUSED_PAD src0_sel:BYTE_0
	v_add_u32_sdwa v0, v5, v4 dst_sel:DWORD dst_unused:UNUSED_PAD src0_sel:BYTE_1 src1_sel:DWORD
	v_ashrrev_i32_e32 v6, 31, v0
	v_mul_lo_u32 v7, v19, v0
	v_mad_u64_u32 v[14:15], s[4:5], v18, v0, 0
	v_pk_mov_b32 v[8:9], v[16:17], v[16:17] op_sel:[0,1]
	v_mul_lo_u32 v0, v18, v6
	v_pk_mov_b32 v[10:11], v[18:19], v[18:19] op_sel:[0,1]
	v_add3_u32 v0, v15, v0, v7
	v_cmp_ne_u32_sdwa s[4:5], v5, v1 src0_sel:BYTE_0 src1_sel:DWORD
                                        ; implicit-def: $vgpr16_vgpr17
	s_and_saveexec_b64 s[6:7], s[4:5]
	s_xor_b64 s[4:5], exec, s[6:7]
	s_cbranch_execz .LBB16_6
; %bb.1:
	v_cmp_ne_u32_sdwa s[6:7], v5, v1 src0_sel:BYTE_1 src1_sel:DWORD
                                        ; implicit-def: $vgpr16_vgpr17
                                        ; implicit-def: $agpr8_agpr9
	s_and_saveexec_b64 s[10:11], s[6:7]
	s_xor_b64 s[6:7], exec, s[10:11]
	s_cbranch_execz .LBB16_3
; %bb.2:
	flat_load_dwordx2 v[6:7], v[2:3] offset:96
	v_add_u32_e32 v1, v1, v4
	v_pk_mov_b32 v[18:19], v[10:11], v[10:11] op_sel:[0,1]
	v_ashrrev_i32_e32 v4, 31, v1
	v_pk_mov_b32 v[16:17], v[8:9], v[8:9] op_sel:[0,1]
	v_mul_lo_u32 v4, v18, v4
	v_mul_lo_u32 v5, v19, v1
	v_mad_u64_u32 v[16:17], s[10:11], v18, v1, v[16:17]
	v_add3_u32 v17, v5, v17, v4
	v_accvgpr_write_b32 a8, v16
	v_accvgpr_write_b32 a9, v17
	s_waitcnt vmcnt(0) lgkmcnt(0)
	v_lshrrev_b64 v[16:17], 21, v[6:7]
.LBB16_3:
	s_andn2_saveexec_b64 s[6:7], s[6:7]
	s_cbranch_execz .LBB16_5
; %bb.4:
	flat_load_dword v1, v[2:3] offset:100
	v_add_co_u32_e32 v4, vcc, v14, v8
	v_addc_co_u32_e32 v5, vcc, v0, v9, vcc
	v_accvgpr_write_b32 a9, v5
	v_accvgpr_write_b32 a8, v4
	v_pk_mov_b32 v[10:11], v[12:13], v[12:13] op_sel:[0,1]
	s_waitcnt vmcnt(0) lgkmcnt(0)
	v_lshrrev_b32_e32 v16, 10, v1
.LBB16_5:
	s_or_b64 exec, exec, s[6:7]
.LBB16_6:
	s_andn2_saveexec_b64 s[4:5], s[4:5]
	s_cbranch_execz .LBB16_8
; %bb.7:
	flat_load_dwordx2 v[16:17], v[2:3] offset:96
	v_pk_mov_b32 v[4:5], 0, 0
	v_accvgpr_write_b32 a9, v5
	v_accvgpr_write_b32 a8, v4
	v_pk_mov_b32 v[10:11], v[8:9], v[8:9] op_sel:[0,1]
.LBB16_8:
	s_or_b64 exec, exec, s[4:5]
	flat_load_dwordx4 v[22:25], v[2:3] offset:16
	v_add_co_u32_e32 v1, vcc, v12, v8
	v_addc_co_u32_e32 v4, vcc, v13, v9, vcc
	v_add_co_u32_e32 v18, vcc, v1, v14
	v_accvgpr_write_b32 a2, v10
	v_addc_co_u32_e32 v0, vcc, v4, v0, vcc
	v_accvgpr_write_b32 a3, v11
	v_accvgpr_write_b32 a15, v0
	v_cmp_ge_i32_e32 vcc, v61, v20
	s_and_saveexec_b64 s[4:5], vcc
	s_xor_b64 s[4:5], exec, s[4:5]
	s_cbranch_execz .LBB16_41
; %bb.9:
	v_accvgpr_read_b32 v0, a6
	v_accvgpr_read_b32 v1, a7
	flat_load_dword v0, v[0:1]
	v_accvgpr_read_b32 v1, a15
	s_waitcnt vmcnt(0) lgkmcnt(0)
	v_ashrrev_i32_e32 v2, 31, v0
	v_mul_lo_u32 v1, v1, v0
	v_mul_lo_u32 v2, v18, v2
	v_mad_u64_u32 v[4:5], s[6:7], v18, v0, v[22:23]
	v_add3_u32 v5, v1, v5, v2
	v_cmp_ne_u64_e32 vcc, v[24:25], v[4:5]
	s_and_saveexec_b64 s[6:7], vcc
	s_cbranch_execz .LBB16_40
; %bb.10:
	v_mad_u64_u32 v[4:5], s[10:11], v18, v0, 0
	v_add3_u32 v0, v5, v2, v1
	v_accvgpr_read_b32 v2, a8
	v_accvgpr_read_b32 v3, a9
	v_add_co_u32_e32 v16, vcc, v24, v2
	v_addc_co_u32_e32 v17, vcc, v25, v3, vcc
	v_add_co_u32_e32 v1, vcc, v22, v2
	v_addc_co_u32_e32 v2, vcc, v23, v3, vcc
	v_add_co_u32_e32 v18, vcc, v1, v4
	v_sub_u32_e32 v1, v61, v20
	v_addc_co_u32_e32 v19, vcc, v2, v0, vcc
	v_ashrrev_i32_e32 v0, 31, v1
	v_lshrrev_b32_e32 v0, 26, v0
	v_add_u32_e32 v0, v1, v0
	v_and_b32_e32 v2, 0xffffffc0, v0
	v_sub_u32_e32 v20, v1, v2
	v_cmp_gt_i32_e32 vcc, 1, v20
	v_mov_b32_e32 v1, 0
	s_and_saveexec_b64 s[10:11], vcc
; %bb.11:
	v_or_b32_e32 v1, v16, v18
	v_and_b32_e32 v1, 15, v1
	v_cmp_ne_u32_e32 vcc, 0, v1
	v_cndmask_b32_e64 v1, 0, 1, vcc
; %bb.12:
	s_or_b64 exec, exec, s[10:11]
	v_ashrrev_i32_e32 v21, 6, v0
	;;#ASMSTART
	;;#ASMEND
	v_cmp_ne_u32_e32 vcc, 0, v1
	s_cbranch_vccz .LBB16_14
; %bb.13:
	s_mov_b64 s[18:19], -1
	s_mov_b64 s[14:15], 0
	v_pk_mov_b32 v[4:5], 0, 0
	s_mov_b64 s[10:11], 0
                                        ; implicit-def: $vgpr2_vgpr3
                                        ; implicit-def: $vgpr0_vgpr1
	v_mov_b32_e32 v6, v20
	v_mov_b32_e32 v7, v21
	s_and_saveexec_b64 s[16:17], s[18:19]
	s_cbranch_execnz .LBB16_25
	s_branch .LBB16_34
.LBB16_14:
	v_accvgpr_read_b32 v2, a2
	v_accvgpr_read_b32 v3, a3
	v_ashrrev_i32_e32 v0, 31, v3
	v_lshrrev_b32_e32 v0, 20, v0
	v_add_co_u32_e32 v0, vcc, v2, v0
	v_addc_co_u32_e32 v1, vcc, 0, v3, vcc
	v_ashrrev_i64 v[8:9], 12, v[0:1]
	v_ashrrev_i32_e32 v0, 31, v21
	v_sub_co_u32_e32 v12, vcc, v8, v21
	v_subb_co_u32_e32 v13, vcc, v9, v0, vcc
	v_cmp_gt_i64_e32 vcc, 1, v[12:13]
	s_mov_b64 s[18:19], 0
	s_mov_b64 s[10:11], -1
	v_pk_mov_b32 v[4:5], 0, 0
	s_mov_b64 s[14:15], 0
                                        ; implicit-def: $vgpr2_vgpr3
                                        ; implicit-def: $vgpr0_vgpr1
                                        ; implicit-def: $vgpr6
                                        ; implicit-def: $vgpr7
	s_and_saveexec_b64 s[16:17], vcc
	s_cbranch_execz .LBB16_24
; %bb.15:
	v_accvgpr_read_b32 v2, a2
	v_lshlrev_b64 v[0:1], 12, v[8:9]
	v_accvgpr_read_b32 v3, a3
	v_cmp_ne_u64_e32 vcc, v[2:3], v[0:1]
	v_pk_mov_b32 v[4:5], 0, 0
                                        ; implicit-def: $vgpr2_vgpr3
                                        ; implicit-def: $vgpr6
                                        ; implicit-def: $vgpr7
	s_and_saveexec_b64 s[10:11], vcc
	s_cbranch_execz .LBB16_23
; %bb.16:
	v_accvgpr_read_b32 v23, a3
	v_accvgpr_read_b32 v22, a2
	v_sub_co_u32_e32 v4, vcc, v22, v0
	v_subb_co_u32_e32 v5, vcc, v23, v1, vcc
	v_ashrrev_i32_e32 v2, 31, v5
	v_lshrrev_b32_e32 v2, 22, v2
	v_add_co_u32_e32 v6, vcc, v4, v2
	v_addc_co_u32_e32 v7, vcc, 0, v5, vcc
	v_and_b32_e32 v2, 0xfffffc00, v6
	v_add_co_u32_e32 v10, vcc, v2, v0
	v_addc_co_u32_e32 v11, vcc, v7, v1, vcc
	v_sub_co_u32_e32 v8, vcc, v4, v2
	v_subb_co_u32_e32 v9, vcc, v5, v7, vcc
	v_mov_b32_e32 v3, 0
	v_ashrrev_i64 v[14:15], 10, v[6:7]
	v_cmp_lt_i64_e32 vcc, 15, v[8:9]
	s_and_saveexec_b64 s[14:15], vcc
; %bb.17:
	v_add_co_u32_e32 v14, vcc, 1, v14
	v_and_b32_e32 v2, 15, v22
	v_sub_co_u32_e32 v6, vcc, v8, v2
	v_subbrev_co_u32_e32 v7, vcc, 0, v9, vcc
	v_add_co_u32_e32 v10, vcc, v6, v10
	v_addc_co_u32_e32 v11, vcc, v7, v11, vcc
	v_pk_mov_b32 v[8:9], v[2:3], v[2:3] op_sel:[0,1]
; %bb.18:
	s_or_b64 exec, exec, s[14:15]
	v_lshlrev_b32_e32 v2, 6, v12
	v_sub_u32_e32 v2, v20, v2
	v_ashrrev_i32_e32 v3, 31, v2
	v_lshrrev_b32_e32 v3, 26, v3
	v_add_u32_e32 v3, v2, v3
	v_ashrrev_i32_e32 v12, 6, v3
	v_and_b32_e32 v3, 0xffffffc0, v3
	v_sub_u32_e32 v13, v2, v3
	v_lshlrev_b32_e32 v2, 4, v13
	v_lshl_add_u32 v2, v12, 10, v2
	v_ashrrev_i32_e32 v3, 31, v2
	v_sub_co_u32_e32 v4, vcc, v4, v2
	v_subb_co_u32_e32 v5, vcc, v5, v3, vcc
	v_cmp_gt_i64_e32 vcc, 16, v[4:5]
	s_mov_b64 s[20:21], -1
	v_pk_mov_b32 v[4:5], 0, 0
                                        ; implicit-def: $agpr2_agpr3
                                        ; implicit-def: $vgpr6
                                        ; implicit-def: $vgpr7
	s_and_saveexec_b64 s[14:15], vcc
	s_cbranch_execz .LBB16_22
; %bb.19:
	v_cmp_ne_u64_e32 vcc, 0, v[8:9]
	v_pk_mov_b32 v[4:5], 0, 0
                                        ; implicit-def: $vgpr6
                                        ; implicit-def: $vgpr7
	s_and_saveexec_b64 s[20:21], vcc
; %bb.20:
	v_sub_u32_e32 v4, v12, v14
	v_lshl_add_u32 v4, v4, 6, v13
	v_ashrrev_i32_e32 v5, 31, v4
	v_lshrrev_b32_e32 v5, 26, v5
	v_add_u32_e32 v5, v4, v5
	v_and_b32_e32 v6, 0xffffffc0, v5
	s_mov_b64 s[18:19], exec
	v_sub_u32_e32 v6, v4, v6
	v_ashrrev_i32_e32 v7, 6, v5
	v_pk_mov_b32 v[4:5], v[10:11], v[10:11] op_sel:[0,1]
; %bb.21:
	s_or_b64 exec, exec, s[20:21]
	v_accvgpr_write_b32 a2, v8
	s_xor_b64 s[20:21], exec, -1
	s_and_b64 s[18:19], s[18:19], exec
	v_accvgpr_write_b32 a3, v9
.LBB16_22:
	s_or_b64 exec, exec, s[14:15]
	s_and_b64 s[14:15], s[20:21], exec
	s_and_b64 s[18:19], s[18:19], exec
.LBB16_23:
	s_or_b64 exec, exec, s[10:11]
	s_xor_b64 s[10:11], exec, -1
	s_and_b64 s[14:15], s[14:15], exec
	s_and_b64 s[18:19], s[18:19], exec
.LBB16_24:
	s_or_b64 exec, exec, s[16:17]
	s_and_saveexec_b64 s[16:17], s[18:19]
	s_cbranch_execz .LBB16_34
.LBB16_25:
	v_accvgpr_read_b32 v13, a3
	v_ashrrev_i32_e32 v8, 31, v13
	v_accvgpr_read_b32 v12, a2
	v_lshrrev_b32_e32 v8, 21, v8
	v_add_co_u32_e32 v8, vcc, v12, v8
	v_addc_co_u32_e32 v9, vcc, 0, v13, vcc
	v_ashrrev_i64 v[10:11], 11, v[8:9]
	v_ashrrev_i32_e32 v9, 31, v7
	v_sub_co_u32_e32 v8, vcc, v10, v7
	v_subb_co_u32_e32 v9, vcc, v11, v9, vcc
	v_cmp_gt_i64_e32 vcc, 1, v[8:9]
	s_and_saveexec_b64 s[18:19], vcc
	s_xor_b64 s[18:19], exec, s[18:19]
	s_cbranch_execz .LBB16_31
; %bb.26:
	v_lshlrev_b64 v[10:11], 11, v[10:11]
	v_cmp_ne_u64_e32 vcc, v[12:13], v[10:11]
	s_and_saveexec_b64 s[20:21], vcc
	s_cbranch_execz .LBB16_30
; %bb.27:
	v_lshlrev_b32_e32 v7, 6, v8
	v_sub_co_u32_e32 v12, vcc, v12, v10
	v_sub_u32_e32 v6, v6, v7
	v_subb_co_u32_e32 v13, vcc, v13, v11, vcc
	v_ashrrev_i32_e32 v7, 31, v6
	v_cmp_gt_i64_e32 vcc, v[12:13], v[6:7]
	s_and_b64 exec, exec, vcc
	s_cbranch_execz .LBB16_30
; %bb.28:
	v_add_co_u32_e32 v4, vcc, v10, v4
	v_addc_co_u32_e32 v5, vcc, v11, v5, vcc
	v_add_co_u32_e32 v6, vcc, v4, v6
	v_addc_co_u32_e32 v7, vcc, v5, v7, vcc
	;; [unrolled: 2-line block ×3, first 2 shown]
	flat_load_ubyte v8, v[4:5]
	v_add_co_u32_e32 v4, vcc, v6, v18
	v_addc_co_u32_e32 v5, vcc, v7, v19, vcc
	s_and_b64 vcc, exec, -1
	s_waitcnt vmcnt(0) lgkmcnt(0)
	flat_store_byte v[4:5], v8 glc slc
.LBB16_29:                              ; =>This Inner Loop Header: Depth=1
	s_mov_b64 vcc, vcc
	s_cbranch_vccnz .LBB16_29
.LBB16_30:
	s_or_b64 exec, exec, s[20:21]
                                        ; implicit-def: $vgpr7
                                        ; implicit-def: $vgpr6
                                        ; implicit-def: $vgpr4_vgpr5
.LBB16_31:
	s_andn2_saveexec_b64 s[18:19], s[18:19]
	s_cbranch_execz .LBB16_34
; %bb.32:
	v_lshl_add_u32 v6, v7, 11, v6
	v_ashrrev_i32_e32 v7, 31, v6
	v_add_co_u32_e32 v6, vcc, v4, v6
	v_addc_co_u32_e32 v7, vcc, v5, v7, vcc
	v_add_co_u32_e32 v4, vcc, v6, v18
	v_addc_co_u32_e32 v5, vcc, v7, v19, vcc
	;; [unrolled: 2-line block ×3, first 2 shown]
	s_and_b64 vcc, exec, 0
.LBB16_33:                              ; =>This Inner Loop Header: Depth=1
	flat_load_ubyte v8, v[6:7] glc slc
	flat_load_ubyte v9, v[6:7] offset:64 glc slc
	flat_load_ubyte v10, v[6:7] offset:128 glc slc
	;; [unrolled: 1-line block ×31, first 2 shown]
	s_waitcnt vmcnt(0) lgkmcnt(0)
	flat_store_byte v[4:5], v8 glc slc
	flat_store_byte v[4:5], v9 offset:64 glc slc
	flat_store_byte v[4:5], v10 offset:128 glc slc
	;; [unrolled: 1-line block ×31, first 2 shown]
	s_mov_b64 vcc, vcc
	s_cbranch_vccz .LBB16_33
.LBB16_34:
	s_or_b64 exec, exec, s[16:17]
	s_and_saveexec_b64 s[16:17], s[14:15]
	s_cbranch_execz .LBB16_37
; %bb.35:
	v_add_co_u32_e32 v2, vcc, v0, v2
	v_addc_co_u32_e32 v3, vcc, v1, v3, vcc
	v_add_co_u32_e32 v0, vcc, v2, v18
	v_addc_co_u32_e32 v1, vcc, v3, v19, vcc
	v_add_co_u32_e32 v2, vcc, v2, v16
	v_addc_co_u32_e32 v3, vcc, v3, v17, vcc
	s_and_b64 vcc, exec, 0
.LBB16_36:                              ; =>This Inner Loop Header: Depth=1
	global_load_dwordx4 v[4:7], v[2:3], off glc slc
	s_waitcnt vmcnt(0)
	global_store_dwordx4 v[0:1], v[4:7], off glc slc
	s_mov_b64 vcc, vcc
	s_cbranch_vccz .LBB16_36
.LBB16_37:
	s_or_b64 exec, exec, s[16:17]
	s_and_saveexec_b64 s[14:15], s[10:11]
	s_xor_b64 s[14:15], exec, s[14:15]
	s_cbranch_execz .LBB16_40
; %bb.38:
	v_lshlrev_b32_e32 v0, 4, v20
	v_lshl_add_u32 v2, v21, 12, v0
	v_ashrrev_i32_e32 v3, 31, v2
	v_add_co_u32_e32 v0, vcc, v18, v2
	v_addc_co_u32_e32 v1, vcc, v19, v3, vcc
	v_add_co_u32_e32 v2, vcc, v16, v2
	v_addc_co_u32_e32 v3, vcc, v17, v3, vcc
	s_and_b64 vcc, exec, 0
.LBB16_39:                              ; =>This Inner Loop Header: Depth=1
	global_load_dwordx4 v[4:7], v[2:3], off glc slc
	global_load_dwordx4 v[8:11], v[2:3], off offset:1024 glc slc
	global_load_dwordx4 v[12:15], v[2:3], off offset:2048 glc slc
	;; [unrolled: 1-line block ×3, first 2 shown]
	s_waitcnt vmcnt(0)
	global_store_dwordx4 v[0:1], v[4:7], off glc slc
	global_store_dwordx4 v[0:1], v[8:11], off offset:1024 glc slc
	global_store_dwordx4 v[0:1], v[12:15], off offset:2048 glc slc
	;; [unrolled: 1-line block ×3, first 2 shown]
	s_mov_b64 vcc, vcc
	s_cbranch_vccz .LBB16_39
.LBB16_40:
	s_or_b64 exec, exec, s[6:7]
                                        ; implicit-def: $agpr2_agpr3
                                        ; implicit-def: $agpr8_agpr9
                                        ; implicit-def: $vgpr16_vgpr17
                                        ; implicit-def: $vgpr22_vgpr23
                                        ; implicit-def: $vgpr61
                                        ; implicit-def: $vgpr20
                                        ; implicit-def: $agpr6_agpr7
                                        ; implicit-def: $vgpr31
                                        ; implicit-def: $vgpr2_vgpr3
                                        ; implicit-def: $vgpr18
                                        ; implicit-def: $agpr15
.LBB16_41:
	s_andn2_saveexec_b64 s[38:39], s[4:5]
	s_cbranch_execz .LBB16_1054
; %bb.42:
	s_trap 2
	ds_read_b64 v[4:5], v0
	s_waitcnt lgkmcnt(0)
	v_cmp_ne_u32_e32 vcc, -1, v4
	v_cndmask_b32_e64 v1, 0, 1, vcc
	v_cmp_ne_u32_e32 vcc, -1, v5
	v_addc_co_u32_e64 v0, s[4:5], 0, v1, vcc
	v_lshlrev_b32_e32 v4, 1, v0
	v_cmp_le_i32_e64 s[4:5], v4, v20
	s_and_saveexec_b64 s[6:7], s[4:5]
	s_xor_b64 s[40:41], exec, s[6:7]
	s_cbranch_execz .LBB16_1051
; %bb.43:
	flat_load_dwordx2 v[4:5], v[2:3] offset:104
	flat_load_ushort v13, v[2:3] offset:8
	flat_load_dword v12, v[2:3] offset:4
	s_trap 2
	s_load_dword s4, s[8:9], 0x0
	v_mov_b32_e32 v6, 0
	v_mov_b32_e32 v62, 4
	s_waitcnt lgkmcnt(0)
	s_cmp_lt_u32 s12, s4
	s_cselect_b32 s4, 12, 18
	s_add_u32 s4, s8, s4
	s_addc_u32 s5, s9, 0
	global_load_ushort v17, v6, s[4:5]
	ds_read_b32 v6, v0
	v_cmp_ge_i32_e64 s[4:5], v61, v1
	s_waitcnt lgkmcnt(0)
	v_readfirstlane_b32 s18, v6
	s_and_saveexec_b64 s[6:7], s[4:5]
	s_cbranch_execz .LBB16_53
; %bb.44:
	v_cmp_le_u32_e64 s[4:5], v0, v61
                                        ; implicit-def: $vgpr62
	s_and_saveexec_b64 s[10:11], s[4:5]
	s_xor_b64 s[4:5], exec, s[10:11]
	s_cbranch_execz .LBB16_50
; %bb.45:
	v_cndmask_b32_e64 v6, 0, 1, vcc
	v_sub_u32_e32 v6, v20, v6
	v_cmp_ge_u32_e32 vcc, v61, v6
                                        ; implicit-def: $sgpr12
	s_and_saveexec_b64 s[10:11], vcc
	s_xor_b64 s[10:11], exec, s[10:11]
; %bb.46:
	s_mov_b32 s12, 16
                                        ; implicit-def: $vgpr0
; %bb.47:
	s_or_saveexec_b64 s[10:11], s[10:11]
	v_mov_b32_e32 v62, s12
	s_xor_b64 exec, exec, s[10:11]
; %bb.48:
	v_sub_u32_e32 v0, v20, v0
	v_cmp_ge_i32_e32 vcc, v61, v0
	v_cndmask_b32_e64 v0, 0, 1, vcc
	v_lshlrev_b32_e32 v62, 5, v0
; %bb.49:
	s_or_b64 exec, exec, s[10:11]
.LBB16_50:
	s_andn2_saveexec_b64 s[4:5], s[4:5]
; %bb.51:
	v_mov_b32_e32 v62, 8
; %bb.52:
	s_or_b64 exec, exec, s[4:5]
.LBB16_53:
	s_or_b64 exec, exec, s[6:7]
	v_and_b32_e32 v0, 36, v62
	v_cmp_ne_u32_e32 vcc, 0, v0
	v_mov_b32_e32 v14, -1
	s_and_saveexec_b64 s[4:5], vcc
	s_cbranch_execz .LBB16_55
; %bb.54:
	s_trap 2
	ds_read_b32 v14, v0
.LBB16_55:
	s_or_b64 exec, exec, s[4:5]
	v_and_b32_e32 v0, 24, v62
	v_cmp_ne_u32_e64 s[4:5], 0, v0
	s_and_saveexec_b64 s[6:7], s[4:5]
	s_cbranch_execz .LBB16_57
; %bb.56:
	s_trap 2
	s_waitcnt lgkmcnt(0)
	ds_read_b32 v14, v0
.LBB16_57:
	s_or_b64 exec, exec, s[6:7]
	s_waitcnt vmcnt(0)
	v_lshrrev_b64 v[6:7], 31, v[12:13]
	v_pk_mov_b32 v[12:13], 0, 0
	v_and_b32_e32 v0, 3, v6
	v_pk_mov_b32 v[40:41], v[12:13], v[12:13] op_sel:[0,1]
                                        ; implicit-def: $agpr16_agpr17
                                        ; implicit-def: $vgpr54
                                        ; implicit-def: $vgpr26_vgpr27
                                        ; implicit-def: $vgpr44_vgpr45
                                        ; implicit-def: $vgpr38_vgpr39
                                        ; implicit-def: $vgpr28_vgpr29
	s_and_saveexec_b64 s[4:5], vcc
	s_cbranch_execz .LBB16_67
; %bb.58:
	s_trap 2
	ds_read_b64 v[6:7], v0
	s_waitcnt lgkmcnt(1)
	v_ashrrev_i32_e32 v15, 31, v14
	v_lshlrev_b64 v[8:9], 3, v[14:15]
	s_movk_i32 s6, 0xa8
                                        ; implicit-def: $agpr16_agpr17
	s_waitcnt lgkmcnt(0)
	v_add_co_u32_e32 v6, vcc, v6, v8
	v_addc_co_u32_e32 v7, vcc, v7, v9, vcc
	flat_load_dwordx2 v[6:7], v[6:7]
	v_and_b32_e32 v8, 0xffff, v0
	s_waitcnt vmcnt(0) lgkmcnt(0)
	v_mad_u64_u32 v[6:7], s[6:7], v8, s6, v[6:7]
	flat_load_dword v8, v[6:7] offset:640
	v_add_co_u32_e32 v12, vcc, 0x1f8, v6
	v_addc_co_u32_e32 v13, vcc, 0, v7, vcc
	s_waitcnt vmcnt(0) lgkmcnt(0)
	v_cmp_eq_u32_e32 vcc, 1, v8
	s_and_saveexec_b64 s[6:7], vcc
	s_cbranch_execz .LBB16_60
; %bb.59:
	flat_load_dwordx2 v[8:9], v[12:13] offset:144
	v_or_b32_e32 v62, 0x2000, v62
	s_waitcnt vmcnt(0) lgkmcnt(0)
	flat_load_dwordx2 v[6:7], v[8:9]
	s_trap 2
	v_accvgpr_write_b32 a17, v9
	v_accvgpr_write_b32 a16, v8
	s_waitcnt vmcnt(0) lgkmcnt(0)
	ds_write_b64 v0, v[6:7]
	flat_load_dwordx2 v[6:7], v[8:9] offset:8
	s_waitcnt vmcnt(0) lgkmcnt(0)
	ds_write_b64 v0, v[6:7]
	flat_load_dwordx2 v[6:7], v[8:9] offset:16
	s_waitcnt vmcnt(0) lgkmcnt(0)
	ds_write_b64 v0, v[6:7]
.LBB16_60:
	s_or_b64 exec, exec, s[6:7]
	flat_load_dwordx2 v[6:7], v[12:13] offset:104
	v_and_b32_e32 v8, 32, v62
                                        ; implicit-def: $vgpr28_vgpr29
	s_waitcnt vmcnt(0) lgkmcnt(0)
	v_add_co_u32_e32 v6, vcc, 3, v6
	v_addc_co_u32_e32 v27, vcc, 0, v7, vcc
	v_and_b32_e32 v26, -4, v6
	v_cmp_ne_u32_e32 vcc, 0, v8
	s_and_saveexec_b64 s[6:7], vcc
	s_cbranch_execz .LBB16_62
; %bb.61:
	flat_load_dwordx2 v[28:29], v[12:13] offset:56
	s_waitcnt vmcnt(0) lgkmcnt(0)
	flat_store_dwordx2 v[28:29], v[26:27]
.LBB16_62:
	s_or_b64 exec, exec, s[6:7]
	v_and_b32_e32 v6, 4, v62
	v_cmp_ne_u32_e32 vcc, 0, v6
	v_pk_mov_b32 v[40:41], 0, 0
                                        ; implicit-def: $vgpr54
                                        ; implicit-def: $vgpr44_vgpr45
                                        ; implicit-def: $vgpr38_vgpr39
	s_and_saveexec_b64 s[6:7], vcc
	s_cbranch_execz .LBB16_66
; %bb.63:
	v_and_b32_e32 v6, 0x800, v62
	v_cmp_eq_u32_e32 vcc, 0, v6
	s_and_saveexec_b64 s[10:11], vcc
	s_cbranch_execz .LBB16_65
; %bb.64:
	s_trap 2
	ds_write_b64 v0, v[12:13]
.LBB16_65:
	s_or_b64 exec, exec, s[10:11]
	flat_load_dwordx2 v[28:29], v[12:13] offset:48
	v_or_b32_e32 v6, 0x100, v62
	s_waitcnt vmcnt(0) lgkmcnt(0)
	flat_load_dwordx2 v[38:39], v[28:29] glc
	flat_load_dwordx2 v[40:41], v[12:13] offset:96
	flat_load_dword v54, v[12:13] offset:72
	flat_load_dwordx2 v[44:45], v[12:13] offset:16
	s_waitcnt vmcnt(0) lgkmcnt(0)
	v_cmp_eq_u64_e32 vcc, 0, v[40:41]
	v_cndmask_b32_e32 v62, v6, v62, vcc
.LBB16_66:
	s_or_b64 exec, exec, s[6:7]
.LBB16_67:
	s_or_b64 exec, exec, s[4:5]
	v_and_b32_e32 v6, 24, v62
	v_cmp_ne_u32_e32 vcc, 0, v6
                                        ; implicit-def: $vgpr46_vgpr47
	s_and_saveexec_b64 s[4:5], vcc
	s_cbranch_execz .LBB16_75
; %bb.68:
	s_trap 2
	ds_read_b64 v[6:7], v0
	s_waitcnt lgkmcnt(0)
	v_ashrrev_i32_e32 v15, 31, v14
	v_lshlrev_b64 v[8:9], 3, v[14:15]
	v_and_b32_e32 v0, 0xffff, v0
	s_movk_i32 s6, 0xa8
	v_add_co_u32_e32 v6, vcc, v6, v8
	v_addc_co_u32_e32 v7, vcc, v7, v9, vcc
	flat_load_dwordx2 v[6:7], v[6:7]
                                        ; implicit-def: $vgpr46_vgpr47
	s_waitcnt vmcnt(0) lgkmcnt(0)
	v_mad_u64_u32 v[12:13], s[6:7], v0, s6, v[6:7]
	flat_load_dwordx4 v[40:43], v[12:13] offset:96
	v_or_b32_e32 v0, 0x100, v62
	s_waitcnt vmcnt(0) lgkmcnt(0)
	v_cmp_eq_u64_e32 vcc, 0, v[40:41]
	v_cndmask_b32_e32 v62, v0, v62, vcc
	v_and_b32_e32 v0, 16, v62
	v_cmp_ne_u32_e32 vcc, 0, v0
	s_and_saveexec_b64 s[6:7], vcc
	s_cbranch_execz .LBB16_70
; %bb.69:
	flat_load_dwordx2 v[46:47], v[12:13] offset:120
	flat_load_dwordx2 v[28:29], v[12:13] offset:48
	;; [unrolled: 1-line block ×3, first 2 shown]
.LBB16_70:
	s_or_b64 exec, exec, s[6:7]
	v_add_co_u32_e32 v0, vcc, 3, v42
	v_addc_co_u32_e32 v27, vcc, 0, v43, vcc
	v_and_b32_e32 v26, -4, v0
	v_and_b32_e32 v0, 8, v62
	v_cmp_ne_u32_e32 vcc, 0, v0
	s_and_saveexec_b64 s[6:7], vcc
	s_cbranch_execz .LBB16_74
; %bb.71:
	v_and_b32_e32 v0, 0x800, v62
	v_cmp_eq_u32_e32 vcc, 0, v0
	s_and_saveexec_b64 s[10:11], vcc
	s_cbranch_execz .LBB16_73
; %bb.72:
	s_trap 2
	ds_write_b64 v0, v[12:13]
.LBB16_73:
	s_or_b64 exec, exec, s[10:11]
	s_waitcnt vmcnt(0) lgkmcnt(0)
	flat_load_dwordx2 v[28:29], v[12:13] offset:56
	s_waitcnt vmcnt(0) lgkmcnt(0)
	flat_load_dwordx2 v[38:39], v[28:29] glc
	flat_load_dword v54, v[12:13] offset:72
	flat_load_dwordx2 v[44:45], v[12:13] offset:16
.LBB16_74:
	s_or_b64 exec, exec, s[6:7]
.LBB16_75:
	s_or_b64 exec, exec, s[4:5]
	v_cmp_eq_u32_e64 s[4:5], 0, v61
	s_and_saveexec_b64 s[6:7], s[4:5]
	s_cbranch_execz .LBB16_77
; %bb.76:
	flat_load_dwordx2 v[6:7], v[2:3] offset:32
	v_mov_b32_e32 v8, v24
	v_mov_b32_e32 v9, v25
	;; [unrolled: 1-line block ×4, first 2 shown]
	ds_write2_b64 v0, v[8:9], v[10:11] offset1:1
	s_trap 2
	s_waitcnt vmcnt(0) lgkmcnt(0)
	ds_write_b64 v0, v[6:7]
	ds_write_b64 v0, v[4:5]
.LBB16_77:
	s_or_b64 exec, exec, s[6:7]
	v_accvgpr_read_b32 v5, a3
	v_accvgpr_read_b32 v4, a2
	s_mov_b64 s[44:45], 0
	v_cmp_ne_u64_e32 vcc, 0, v[4:5]
	v_pk_mov_b32 v[34:35], 0, 0
	s_and_saveexec_b64 s[42:43], vcc
	s_cbranch_execz .LBB16_1015
; %bb.78:
	flat_load_dword v0, v[2:3] offset:4
	v_lshrrev_b32_e32 v42, 6, v20
	v_mov_b32_e32 v7, 0xfffff000
	s_movk_i32 s19, 0x1000
	v_lshl_add_u32 v7, v42, 12, v7
	v_mov_b32_e32 v8, 0xfffff800
	v_ashrrev_i32_e32 v9, 31, v7
	v_add_co_u32_e32 v52, vcc, s19, v7
	v_lshlrev_b32_e32 v4, 9, v16
	v_ashrrev_i32_e32 v6, 31, v61
	s_movk_i32 s21, 0x800
	v_lshl_add_u32 v8, v42, 11, v8
	v_addc_co_u32_e32 v50, vcc, 0, v9, vcc
	v_accvgpr_write_b32 a10, v22
	v_cvt_f64_u32_e32 v[2:3], 0
	s_ashr_i32 s16, s18, 31
	v_and_b32_e32 v5, 63, v31
	v_and_b32_e32 v51, 0xffffffc0, v20
	v_and_b32_e32 v4, 0x3ffffe00, v4
	v_lshrrev_b32_e32 v6, 26, v6
	v_ashrrev_i32_e32 v10, 31, v8
	v_add_co_u32_e32 v8, vcc, s21, v8
	v_accvgpr_write_b32 a11, v23
	v_accvgpr_write_b32 a12, v24
	;; [unrolled: 1-line block ×3, first 2 shown]
	v_ldexp_f64 v[2:3], v[2:3], 32
	s_lshr_b32 s22, s16, 25
	v_cmp_eq_u32_e64 s[16:17], 0, v5
	v_subrev_u32_e32 v24, 64, v51
	v_accvgpr_write_b32 a34, v4
	v_cvt_f64_u32_e32 v[4:5], v4
	v_add_u32_e32 v6, v61, v6
	v_addc_co_u32_e32 v9, vcc, 0, v10, vcc
	v_lshlrev_b32_e32 v55, 10, v42
	v_ashrrev_i32_e32 v25, 31, v24
	v_add_f64 v[2:3], v[2:3], v[4:5]
	v_ashrrev_i32_e32 v43, 6, v6
	v_and_b32_e32 v4, 0xffffffc0, v6
	v_add_co_u32_e32 v57, vcc, 64, v24
	s_movk_i32 s20, 0x400
	s_add_i32 s18, s18, s22
	v_add_u32_e32 v30, 0xfffffc00, v55
	v_addc_co_u32_e32 v60, vcc, 0, v25, vcc
	v_sub_u32_e32 v5, v61, v4
	v_lshlrev_b32_e32 v4, 12, v43
	v_max_f64 v[2:3], v[2:3], v[2:3]
	v_accvgpr_write_b32 a19, v13
	v_accvgpr_write_b32 a1, v31
	s_ashr_i32 s75, s18, 7
	v_ashrrev_i32_e32 v31, 31, v30
	v_add_co_u32_e32 v32, vcc, s20, v30
	v_accvgpr_write_b32 a47, v3
	v_lshl_add_u32 v16, v5, 4, v4
	v_accvgpr_write_b32 a18, v12
	s_waitcnt vmcnt(0) lgkmcnt(0)
	v_ashrrev_i32_e32 v49, 31, v54
	v_pk_mov_b32 v[12:13], 0, 0
	v_addc_co_u32_e32 v33, vcc, 0, v31, vcc
	s_cmp_gt_i32 s70, 2
	v_accvgpr_write_b32 a46, v2
	v_cmp_le_i32_e64 s[20:21], v5, v1
	v_accvgpr_read_b32 v2, a2
	v_cmp_lt_i32_e64 s[22:23], v5, v1
	v_ashrrev_i32_e32 v1, 31, v16
	v_accvgpr_write_b32 a20, v40
	v_accvgpr_write_b32 a24, v44
	;; [unrolled: 1-line block ×4, first 2 shown]
	v_mov_b32_e32 v21, 0
	v_cmp_eq_u32_e64 s[6:7], 64, v20
	v_cmp_ne_u32_e64 s[10:11], 64, v20
	v_accvgpr_write_b32 a5, v17
	v_cmp_ne_u32_sdwa s[46:47], v17, v20 src0_sel:WORD_0 src1_sel:DWORD
	v_and_b32_e32 v0, 1, v0
	v_cmp_eq_u32_e64 s[24:25], 1, v0
	s_movk_i32 s71, 0xffc0
	s_movk_i32 s72, 0xfc00
	v_accvgpr_write_b32 a0, v20
	v_cmp_eq_u64_e64 s[12:13], 0, v[46:47]
	v_cmp_ne_u64_e64 s[14:15], 0, v[46:47]
	s_movk_i32 s73, 0x270e
	v_mov_b32_e32 v53, 1
	s_movk_i32 s74, 0x108
	v_cmp_gt_i32_e64 s[18:19], 1, v5
	v_accvgpr_read_b32 v3, a3
	v_accvgpr_write_b32 a43, v5
	s_cselect_b64 s[48:49], -1, 0
	s_add_i32 s76, s70, -2
	v_accvgpr_write_b32 a49, v1
	v_pk_mov_b32 v[0:1], v[12:13], v[12:13] op_sel:[0,1]
	s_xor_b64 s[50:51], s[24:25], -1
	v_pk_mov_b32 v[34:35], v[12:13], v[12:13] op_sel:[0,1]
	v_accvgpr_write_b32 a4, v61
	v_accvgpr_write_b32 a21, v41
	;; [unrolled: 1-line block ×17, first 2 shown]
	v_mov_b32_e32 v4, v16
	s_trap 2
	buffer_store_dword v4, off, s[0:3], s33 offset:152 ; 4-byte Folded Spill
	s_nop 0
	buffer_store_dword v5, off, s[0:3], s33 offset:156 ; 4-byte Folded Spill
	s_branch .LBB16_81
.LBB16_79:                              ;   in Loop: Header=BB16_81 Depth=1
	s_or_b64 exec, exec, s[30:31]
.LBB16_80:                              ;   in Loop: Header=BB16_81 Depth=1
	s_or_b64 exec, exec, s[28:29]
	v_accvgpr_read_b32 v0, a32
	v_accvgpr_read_b32 v2, a34
	;; [unrolled: 1-line block ×3, first 2 shown]
	v_add_co_u32_e32 v0, vcc, v0, v2
	v_accvgpr_read_b32 v2, a2
	v_addc_co_u32_e32 v1, vcc, 0, v1, vcc
	v_accvgpr_read_b32 v3, a3
	v_cmp_ge_u64_e32 vcc, v[0:1], v[2:3]
	s_or_b64 s[44:45], vcc, s[44:45]
	s_andn2_b64 exec, exec, s[44:45]
	s_cbranch_execz .LBB16_1014
.LBB16_81:                              ; =>This Loop Header: Depth=1
                                        ;     Child Loop BB16_86 Depth 2
                                        ;       Child Loop BB16_94 Depth 3
                                        ;       Child Loop BB16_118 Depth 3
	;; [unrolled: 1-line block ×9, first 2 shown]
                                        ;         Child Loop BB16_178 Depth 4
                                        ;       Child Loop BB16_187 Depth 3
                                        ;       Child Loop BB16_192 Depth 3
                                        ;         Child Loop BB16_193 Depth 4
                                        ;       Child Loop BB16_165 Depth 3
                                        ;       Child Loop BB16_245 Depth 3
                                        ;     Child Loop BB16_405 Depth 2
                                        ;       Child Loop BB16_411 Depth 3
                                        ;       Child Loop BB16_435 Depth 3
                                        ;       Child Loop BB16_459 Depth 3
                                        ;     Child Loop BB16_263 Depth 2
                                        ;       Child Loop BB16_271 Depth 3
                                        ;       Child Loop BB16_295 Depth 3
	;; [unrolled: 1-line block ×9, first 2 shown]
                                        ;     Child Loop BB16_477 Depth 2
                                        ;       Child Loop BB16_483 Depth 3
                                        ;       Child Loop BB16_507 Depth 3
	;; [unrolled: 1-line block ×3, first 2 shown]
                                        ;     Child Loop BB16_550 Depth 2
                                        ;       Child Loop BB16_553 Depth 3
                                        ;         Child Loop BB16_561 Depth 4
                                        ;         Child Loop BB16_587 Depth 4
	;; [unrolled: 1-line block ×9, first 2 shown]
                                        ;           Child Loop BB16_647 Depth 5
                                        ;         Child Loop BB16_656 Depth 4
                                        ;         Child Loop BB16_661 Depth 4
                                        ;           Child Loop BB16_662 Depth 5
                                        ;         Child Loop BB16_634 Depth 4
                                        ;         Child Loop BB16_713 Depth 4
                                        ;       Child Loop BB16_731 Depth 3
                                        ;         Child Loop BB16_737 Depth 4
                                        ;         Child Loop BB16_775 Depth 4
	;; [unrolled: 1-line block ×3, first 2 shown]
                                        ;     Child Loop BB16_808 Depth 2
                                        ;       Child Loop BB16_816 Depth 3
                                        ;       Child Loop BB16_840 Depth 3
	;; [unrolled: 1-line block ×9, first 2 shown]
                                        ;     Child Loop BB16_948 Depth 2
                                        ;       Child Loop BB16_954 Depth 3
                                        ;       Child Loop BB16_978 Depth 3
	;; [unrolled: 1-line block ×3, first 2 shown]
	v_sub_co_u32_e32 v2, vcc, v2, v0
	v_pk_mov_b32 v[6:7], v[0:1], v[0:1] op_sel:[0,1]
	v_subb_co_u32_e32 v0, vcc, v3, v7, vcc
	v_cvt_f64_u32_e32 v[0:1], v0
	v_ldexp_f64 v[0:1], v[0:1], 32
	v_cvt_f64_u32_e32 v[2:3], v2
	v_add_f64 v[0:1], v[0:1], v[2:3]
	v_accvgpr_read_b32 v2, a46
	v_accvgpr_read_b32 v3, a47
	v_min_f64 v[0:1], v[2:3], v[0:1]
	v_cvt_i32_f64_e32 v4, v[0:1]
	v_accvgpr_read_b32 v0, a8
	v_accvgpr_read_b32 v1, a9
	v_add_co_u32_e32 v14, vcc, v6, v0
	v_addc_co_u32_e32 v15, vcc, v7, v1, vcc
	v_accvgpr_read_b32 v0, a6
	v_accvgpr_read_b32 v1, a7
	flat_load_dword v0, v[0:1]
	v_accvgpr_read_b32 v10, a10
	v_accvgpr_write_b32 a33, v7
	v_accvgpr_read_b32 v2, a15
	v_accvgpr_read_b32 v3, a14
	;; [unrolled: 1-line block ×3, first 2 shown]
	v_accvgpr_write_b32 a32, v6
	v_accvgpr_read_b32 v13, a13
	v_accvgpr_read_b32 v11, a11
	v_accvgpr_write_b32 a53, v15
	v_accvgpr_write_b32 a52, v14
	s_waitcnt vmcnt(0) lgkmcnt(0)
	v_ashrrev_i32_e32 v1, 31, v0
	v_mul_lo_u32 v2, v2, v0
	v_mul_lo_u32 v1, v3, v1
	v_mad_u64_u32 v[6:7], s[26:27], v3, v0, v[14:15]
	v_add_co_u32_e32 v0, vcc, v12, v14
	v_add3_u32 v7, v2, v7, v1
	v_addc_co_u32_e32 v1, vcc, v13, v15, vcc
	v_add_co_u32_e32 v2, vcc, v10, v6
	v_addc_co_u32_e32 v3, vcc, v11, v7, vcc
	v_max_i32_e32 v13, 0, v4
	v_cmp_ne_u64_e32 vcc, v[0:1], v[2:3]
	v_add_u32_e32 v0, 31, v13
	v_ashrrev_i32_e32 v1, 31, v0
	v_lshrrev_b32_e32 v1, 27, v1
	v_add_u32_e32 v0, v0, v1
	v_ashrrev_i32_e32 v0, 5, v0
	v_lshlrev_b32_e32 v0, 4, v0
	v_accvgpr_write_b32 a55, v7
	v_max_i32_e32 v0, s75, v0
	v_accvgpr_write_b32 a54, v6
	v_accvgpr_write_b32 a50, v0
	v_cmp_lt_i32_e64 s[26:27], 0, v4
	s_mov_b64 s[28:29], exec
	s_and_b64 vcc, s[28:29], vcc
	s_xor_b64 s[52:53], vcc, s[28:29]
	v_accvgpr_write_b32 a48, v13
	s_mov_b64 exec, vcc
	s_cbranch_execz .LBB16_258
; %bb.82:                               ;   in Loop: Header=BB16_81 Depth=1
	v_mov_b32_e32 v0, 0
	v_accvgpr_read_b32 v58, a50
	v_mov_b32_e32 v6, 0
	s_and_saveexec_b64 s[54:55], s[26:27]
	s_cbranch_execz .LBB16_401
; %bb.83:                               ;   in Loop: Header=BB16_81 Depth=1
	s_mov_b32 s77, 1
	s_mov_b64 s[58:59], -1
	s_mov_b64 s[56:57], 0
	v_mov_b32_e32 v6, 0
	v_accvgpr_read_b32 v58, a50
	s_branch .LBB16_86
.LBB16_84:                              ;   in Loop: Header=BB16_86 Depth=2
	s_or_b64 exec, exec, vcc
	v_add_co_u32_e32 v26, vcc, 2, v26
	v_addc_co_u32_e32 v27, vcc, 0, v27, vcc
	flat_store_dwordx2 v[28:29], v[26:27]
.LBB16_85:                              ;   in Loop: Header=BB16_86 Depth=2
	s_or_b64 exec, exec, s[28:29]
	v_add_u32_e32 v6, v58, v6
	v_cmp_ge_i32_e32 vcc, v6, v13
	s_xor_b64 s[28:29], s[58:59], -1
	s_or_b64 s[28:29], s[28:29], vcc
	s_and_b64 s[28:29], exec, s[28:29]
	s_or_b64 s[56:57], s[28:29], s[56:57]
	s_mov_b64 s[58:59], 0
	v_mov_b32_e32 v0, s77
	s_mov_b32 s77, 2
	s_andn2_b64 exec, exec, s[56:57]
	s_cbranch_execz .LBB16_400
.LBB16_86:                              ;   Parent Loop BB16_81 Depth=1
                                        ; =>  This Loop Header: Depth=2
                                        ;       Child Loop BB16_94 Depth 3
                                        ;       Child Loop BB16_118 Depth 3
	;; [unrolled: 1-line block ×9, first 2 shown]
                                        ;         Child Loop BB16_178 Depth 4
                                        ;       Child Loop BB16_187 Depth 3
                                        ;       Child Loop BB16_192 Depth 3
                                        ;         Child Loop BB16_193 Depth 4
                                        ;       Child Loop BB16_165 Depth 3
                                        ;       Child Loop BB16_245 Depth 3
	s_and_saveexec_b64 s[28:29], s[4:5]
	s_cbranch_execz .LBB16_88
; %bb.87:                               ;   in Loop: Header=BB16_86 Depth=2
	s_trap 2
	ds_read2_b64 v[0:3], v0 offset1:1
	v_accvgpr_read_b32 v10, a52
	v_accvgpr_read_b32 v11, a53
	v_ashrrev_i32_e32 v7, 31, v6
	s_waitcnt lgkmcnt(0)
	ds_read_b64 v[4:5], v0
	v_add_co_u32_e32 v0, vcc, v0, v10
	v_addc_co_u32_e32 v1, vcc, v1, v11, vcc
	v_add_co_u32_e32 v0, vcc, v0, v6
	v_addc_co_u32_e32 v1, vcc, v1, v7, vcc
	v_accvgpr_read_b32 v10, a54
	ds_write_b64 v0, v[0:1]
	v_accvgpr_read_b32 v11, a55
	v_add_co_u32_e32 v0, vcc, v2, v10
	v_addc_co_u32_e32 v1, vcc, v3, v11, vcc
	v_add_co_u32_e32 v0, vcc, v0, v6
	v_addc_co_u32_e32 v1, vcc, v1, v7, vcc
	ds_write_b64 v0, v[0:1]
	s_waitcnt lgkmcnt(0)
	v_add_co_u32_e32 v0, vcc, v4, v10
	v_addc_co_u32_e32 v1, vcc, v5, v11, vcc
	v_add_co_u32_e32 v0, vcc, v0, v6
	v_addc_co_u32_e32 v1, vcc, v1, v7, vcc
	v_cmp_ne_u64_e32 vcc, 0, v[4:5]
	v_cndmask_b32_e32 v1, 0, v1, vcc
	v_cndmask_b32_e32 v0, 0, v0, vcc
	ds_write_b64 v0, v[0:1]
.LBB16_88:                              ;   in Loop: Header=BB16_86 Depth=2
	s_or_b64 exec, exec, s[28:29]
	v_and_b32_e32 v0, 8, v62
	v_cmp_ne_u32_e32 vcc, 0, v0
	s_mov_b64 s[30:31], -1
	s_and_saveexec_b64 s[28:29], vcc
	s_cbranch_execz .LBB16_100
; %bb.89:                               ;   in Loop: Header=BB16_86 Depth=2
	v_add_co_u32_e32 v0, vcc, 8, v38
	v_addc_co_u32_e32 v1, vcc, 0, v39, vcc
	v_add_co_u32_e32 v2, vcc, 2, v26
	v_addc_co_u32_e32 v3, vcc, 0, v27, vcc
	v_cmp_lt_u64_e32 vcc, v[0:1], v[2:3]
	v_mov_b32_e32 v0, 1
	s_and_saveexec_b64 s[30:31], vcc
	s_cbranch_execz .LBB16_99
; %bb.90:                               ;   in Loop: Header=BB16_86 Depth=2
	s_mov_b64 s[34:35], 0
	v_mov_b32_e32 v0, 0
                                        ; implicit-def: $sgpr36_sgpr37
	s_branch .LBB16_94
.LBB16_91:                              ;   in Loop: Header=BB16_94 Depth=3
	s_or_b64 exec, exec, s[66:67]
	v_mov_b32_e32 v1, 0
	s_orn2_b64 s[64:65], s[64:65], exec
.LBB16_92:                              ;   in Loop: Header=BB16_94 Depth=3
	s_or_b64 exec, exec, s[62:63]
	s_andn2_b64 vcc, s[36:37], exec
	s_and_b64 s[36:37], s[64:65], exec
	s_or_b64 s[36:37], vcc, s[36:37]
	v_mov_b32_e32 v0, v1
.LBB16_93:                              ;   in Loop: Header=BB16_94 Depth=3
	s_or_b64 exec, exec, s[60:61]
	s_waitcnt vmcnt(0) lgkmcnt(0)
	v_add_co_u32_e32 v4, vcc, 8, v38
	v_addc_co_u32_e32 v5, vcc, 0, v39, vcc
	v_cmp_ge_u64_e32 vcc, v[4:5], v[2:3]
	s_xor_b64 s[60:61], s[36:37], -1
	s_or_b64 vcc, s[60:61], vcc
	s_and_b64 vcc, exec, vcc
	s_or_b64 s[34:35], vcc, s[34:35]
	s_andn2_b64 exec, exec, s[34:35]
	s_cbranch_execz .LBB16_98
.LBB16_94:                              ;   Parent Loop BB16_81 Depth=1
                                        ;     Parent Loop BB16_86 Depth=2
                                        ; =>    This Inner Loop Header: Depth=3
	s_sleep 1
	flat_load_dwordx2 v[38:39], v[28:29] glc
	v_and_b32_e32 v1, 64, v62
	v_cmp_eq_u32_e32 vcc, 0, v1
	s_andn2_b64 s[36:37], s[36:37], exec
	s_and_saveexec_b64 s[60:61], vcc
	s_cbranch_execz .LBB16_93
; %bb.95:                               ;   in Loop: Header=BB16_94 Depth=3
	v_add_u32_e32 v1, 1, v0
	v_cmp_lt_i32_e32 vcc, s73, v0
	s_mov_b64 s[64:65], -1
	s_and_saveexec_b64 s[62:63], vcc
	s_cbranch_execz .LBB16_92
; %bb.96:                               ;   in Loop: Header=BB16_94 Depth=3
	s_trap 2
	ds_read_b64 v[0:1], v0
	s_waitcnt vmcnt(0) lgkmcnt(0)
	flat_load_dword v0, v[0:1] glc
	s_waitcnt vmcnt(0) lgkmcnt(0)
	buffer_invl2
	buffer_wbinvl1_vol
	v_cmp_ne_u32_e32 vcc, 0, v0
	s_and_saveexec_b64 s[66:67], vcc
	s_cbranch_execz .LBB16_91
; %bb.97:                               ;   in Loop: Header=BB16_94 Depth=3
	v_or_b32_e32 v62, 64, v62
	s_xor_b64 s[64:65], exec, -1
	ds_write_b32 v0, v0
	s_trap 2
	s_branch .LBB16_91
.LBB16_98:                              ;   in Loop: Header=BB16_86 Depth=2
	s_or_b64 exec, exec, s[34:35]
	v_and_b32_e32 v0, 8, v62
.LBB16_99:                              ;   in Loop: Header=BB16_86 Depth=2
	s_or_b64 exec, exec, s[30:31]
	v_cmp_eq_u32_e32 vcc, 0, v0
	s_orn2_b64 s[30:31], vcc, exec
	;;#ASMSTART
	s_wakeup
	;;#ASMEND
.LBB16_100:                             ;   in Loop: Header=BB16_86 Depth=2
	s_or_b64 exec, exec, s[28:29]
	v_sub_u32_e32 v0, v13, v6
	s_xor_b64 s[28:29], s[30:31], -1
	v_min_i32_e32 v58, v58, v0
	s_and_saveexec_b64 s[30:31], s[28:29]
	s_cbranch_execz .LBB16_110
; %bb.101:                              ;   in Loop: Header=BB16_86 Depth=2
	v_and_b32_e32 v0, 0x100, v62
	v_cmp_ne_u32_e32 vcc, 0, v0
	v_and_b32_e32 v0, 7, v26
	s_mov_b64 s[28:29], -1
                                        ; implicit-def: $vgpr2_vgpr3
	s_and_saveexec_b64 s[34:35], vcc
	s_cbranch_execz .LBB16_105
; %bb.102:                              ;   in Loop: Header=BB16_86 Depth=2
	v_mad_u64_u32 v[4:5], s[28:29], v0, 24, v[40:41]
	flat_load_dword v1, v[4:5]
	v_ashrrev_i32_e32 v59, 31, v58
	flat_store_dwordx2 v[4:5], v[58:59] offset:8
                                        ; implicit-def: $vgpr2_vgpr3
	s_waitcnt vmcnt(0) lgkmcnt(0)
	v_cmp_ne_u32_e32 vcc, 1, v1
	v_cmp_eq_u32_e64 s[28:29], 1, v1
	s_and_saveexec_b64 s[36:37], s[28:29]
	s_cbranch_execz .LBB16_104
; %bb.103:                              ;   in Loop: Header=BB16_86 Depth=2
	flat_load_dword v2, v[4:5] offset:4 glc
	s_waitcnt vmcnt(0) lgkmcnt(0)
	v_ashrrev_i32_e32 v3, 31, v2
.LBB16_104:                             ;   in Loop: Header=BB16_86 Depth=2
	s_or_b64 exec, exec, s[36:37]
	s_orn2_b64 s[28:29], vcc, exec
.LBB16_105:                             ;   in Loop: Header=BB16_86 Depth=2
	s_or_b64 exec, exec, s[34:35]
	s_and_saveexec_b64 vcc, s[28:29]
; %bb.106:                              ;   in Loop: Header=BB16_86 Depth=2
	v_mad_i64_i32 v[2:3], s[28:29], v0, v54, 0
; %bb.107:                              ;   in Loop: Header=BB16_86 Depth=2
	s_or_b64 exec, exec, vcc
	v_add_co_u32_e32 v0, vcc, v44, v2
	v_addc_co_u32_e32 v1, vcc, v45, v3, vcc
	ds_write_b64 v0, v[0:1] offset:792
	v_and_b32_e32 v0, 0x2000, v62
	v_cmp_ne_u32_e32 vcc, 0, v0
	s_and_saveexec_b64 s[28:29], vcc
	s_cbranch_execz .LBB16_109
; %bb.108:                              ;   in Loop: Header=BB16_86 Depth=2
	ds_read_b64 v[0:1], v0 offset:584
	s_waitcnt lgkmcnt(0)
	v_add_co_u32_e32 v0, vcc, 1, v0
	v_addc_co_u32_e32 v1, vcc, 0, v1, vcc
	ds_write_b64 v0, v[0:1] offset:584
.LBB16_109:                             ;   in Loop: Header=BB16_86 Depth=2
	s_or_b64 exec, exec, s[28:29]
	v_add_co_u32_e32 v26, vcc, 2, v26
	v_addc_co_u32_e32 v27, vcc, 0, v27, vcc
.LBB16_110:                             ;   in Loop: Header=BB16_86 Depth=2
	s_or_b64 exec, exec, s[30:31]
	s_and_saveexec_b64 s[28:29], s[10:11]
	s_cbranch_execz .LBB16_129
; %bb.111:                              ;   in Loop: Header=BB16_86 Depth=2
	s_and_saveexec_b64 vcc, s[46:47]
	s_xor_b64 s[30:31], exec, vcc
	s_cbranch_execz .LBB16_126
; %bb.112:                              ;   in Loop: Header=BB16_86 Depth=2
	s_and_saveexec_b64 s[34:35], s[16:17]
	s_cbranch_execz .LBB16_125
; %bb.113:                              ;   in Loop: Header=BB16_86 Depth=2
	s_mov_b64 s[60:61], exec
	v_mbcnt_lo_u32_b32 v0, s60, 0
	v_mbcnt_hi_u32_b32 v0, s61, v0
	v_cmp_eq_u32_e32 vcc, 0, v0
	s_waitcnt vmcnt(0) lgkmcnt(0)
	buffer_wbinvl1_vol
	s_and_saveexec_b64 s[36:37], vcc
	s_cbranch_execz .LBB16_115
; %bb.114:                              ;   in Loop: Header=BB16_86 Depth=2
	s_bcnt1_i32_b64 vcc_lo, s[60:61]
	v_mov_b32_e32 v20, vcc_lo
	ds_add_u64 v0, v[20:21]
	s_trap 2
.LBB16_115:                             ;   in Loop: Header=BB16_86 Depth=2
	s_or_b64 exec, exec, s[36:37]
	s_trap 2
	ds_read_b64 v[0:1], v0
	v_add_co_u32_e32 v34, vcc, v34, v42
	v_addc_co_u32_e32 v35, vcc, 0, v35, vcc
	s_waitcnt lgkmcnt(0)
	v_cmp_lt_u64_e32 vcc, v[0:1], v[34:35]
	s_and_saveexec_b64 s[36:37], vcc
	s_cbranch_execz .LBB16_124
; %bb.116:                              ;   in Loop: Header=BB16_86 Depth=2
	s_mov_b32 s78, 0
	s_mov_b64 s[60:61], 0
                                        ; implicit-def: $sgpr62_sgpr63
                                        ; implicit-def: $sgpr64_sgpr65
	s_branch .LBB16_118
.LBB16_117:                             ;   in Loop: Header=BB16_118 Depth=3
	s_or_b64 exec, exec, s[68:69]
	s_and_b64 vcc, exec, vcc
	s_or_b64 s[60:61], vcc, s[60:61]
	s_andn2_b64 vcc, s[62:63], exec
	s_and_b64 s[62:63], s[64:65], exec
	s_or_b64 s[62:63], vcc, s[62:63]
	s_andn2_b64 exec, exec, s[60:61]
	s_cbranch_execz .LBB16_122
.LBB16_118:                             ;   Parent Loop BB16_81 Depth=1
                                        ;     Parent Loop BB16_86 Depth=2
                                        ; =>    This Inner Loop Header: Depth=3
	s_add_i32 s78, s78, 1
	s_cmpk_lg_i32 s78, 0x2710
	s_cselect_b64 s[66:67], -1, 0
	s_and_b64 vcc, exec, s[66:67]
                                        ; implicit-def: $sgpr68_sgpr69
	s_cbranch_vccnz .LBB16_120
; %bb.119:                              ;   in Loop: Header=BB16_118 Depth=3
	s_trap 2
	ds_read_b64 v[0:1], v0
	s_andn2_b64 s[66:67], s[66:67], exec
	s_mov_b32 s78, 0
	s_mov_b64 s[68:69], -1
	s_waitcnt lgkmcnt(0)
	flat_load_dword v0, v[0:1] glc
	s_waitcnt vmcnt(0) lgkmcnt(0)
	buffer_invl2
	buffer_wbinvl1_vol
	v_cmp_eq_u32_e32 vcc, 0, v0
	s_and_b64 vcc, vcc, exec
	s_or_b64 s[66:67], s[66:67], vcc
.LBB16_120:                             ;   in Loop: Header=BB16_118 Depth=3
	s_andn2_b64 s[64:65], s[64:65], exec
	s_and_b64 s[68:69], s[68:69], exec
	s_mov_b64 vcc, -1
	s_or_b64 s[64:65], s[64:65], s[68:69]
	s_and_saveexec_b64 s[68:69], s[66:67]
	s_cbranch_execz .LBB16_117
; %bb.121:                              ;   in Loop: Header=BB16_118 Depth=3
	s_sleep 1
	s_trap 2
	ds_read_b64 v[0:1], v0
	s_andn2_b64 s[64:65], s[64:65], exec
	s_waitcnt lgkmcnt(0)
	v_cmp_ge_u64_e32 vcc, v[0:1], v[34:35]
	s_orn2_b64 vcc, vcc, exec
	s_branch .LBB16_117
.LBB16_122:                             ;   in Loop: Header=BB16_86 Depth=2
	s_or_b64 exec, exec, s[60:61]
	s_and_saveexec_b64 vcc, s[62:63]
	s_xor_b64 vcc, exec, vcc
	s_cbranch_execz .LBB16_124
; %bb.123:                              ;   in Loop: Header=BB16_86 Depth=2
	ds_write_b32 v0, v53
	s_trap 2
.LBB16_124:                             ;   in Loop: Header=BB16_86 Depth=2
	s_or_b64 exec, exec, s[36:37]
	;;#ASMSTART
	s_wakeup
	;;#ASMEND
.LBB16_125:                             ;   in Loop: Header=BB16_86 Depth=2
	s_or_b64 exec, exec, s[34:35]
.LBB16_126:                             ;   in Loop: Header=BB16_86 Depth=2
	s_andn2_saveexec_b64 vcc, s[30:31]
	s_cbranch_execz .LBB16_128
; %bb.127:                              ;   in Loop: Header=BB16_86 Depth=2
	s_waitcnt vmcnt(0) lgkmcnt(0)
	buffer_wbinvl1_vol
	s_barrier
.LBB16_128:                             ;   in Loop: Header=BB16_86 Depth=2
	s_or_b64 exec, exec, vcc
.LBB16_129:                             ;   in Loop: Header=BB16_86 Depth=2
	s_or_b64 exec, exec, s[28:29]
	s_trap 2
	ds_read_b32 v0, v0
	v_and_b32_e32 v1, 0x4000, v62
	v_cmp_ne_u32_e32 vcc, 0, v1
	s_xor_b64 s[28:29], s[6:7], -1
	s_and_b64 vcc, s[28:29], vcc
	s_and_saveexec_b64 s[28:29], vcc
	s_cbranch_execz .LBB16_148
; %bb.130:                              ;   in Loop: Header=BB16_86 Depth=2
	s_and_saveexec_b64 vcc, s[46:47]
	s_xor_b64 s[30:31], exec, vcc
	s_cbranch_execz .LBB16_145
; %bb.131:                              ;   in Loop: Header=BB16_86 Depth=2
	s_and_saveexec_b64 s[34:35], s[16:17]
	s_cbranch_execz .LBB16_144
; %bb.132:                              ;   in Loop: Header=BB16_86 Depth=2
	s_mov_b64 s[60:61], exec
	v_mbcnt_lo_u32_b32 v1, s60, 0
	v_mbcnt_hi_u32_b32 v1, s61, v1
	v_cmp_eq_u32_e32 vcc, 0, v1
	s_waitcnt vmcnt(0) lgkmcnt(0)
	buffer_wbinvl1_vol
	s_and_saveexec_b64 s[36:37], vcc
	s_cbranch_execz .LBB16_134
; %bb.133:                              ;   in Loop: Header=BB16_86 Depth=2
	s_bcnt1_i32_b64 vcc_lo, s[60:61]
	v_mov_b32_e32 v20, vcc_lo
	ds_add_u64 v0, v[20:21]
	s_trap 2
.LBB16_134:                             ;   in Loop: Header=BB16_86 Depth=2
	s_or_b64 exec, exec, s[36:37]
	s_trap 2
	ds_read_b64 v[2:3], v0
	v_add_co_u32_e32 v34, vcc, v34, v42
	v_addc_co_u32_e32 v35, vcc, 0, v35, vcc
	s_waitcnt lgkmcnt(0)
	v_cmp_lt_u64_e32 vcc, v[2:3], v[34:35]
	s_and_saveexec_b64 s[36:37], vcc
	s_cbranch_execz .LBB16_143
; %bb.135:                              ;   in Loop: Header=BB16_86 Depth=2
	s_mov_b32 s78, 0
	s_mov_b64 s[60:61], 0
                                        ; implicit-def: $sgpr62_sgpr63
                                        ; implicit-def: $sgpr64_sgpr65
	s_branch .LBB16_137
.LBB16_136:                             ;   in Loop: Header=BB16_137 Depth=3
	s_or_b64 exec, exec, s[68:69]
	s_and_b64 vcc, exec, vcc
	s_or_b64 s[60:61], vcc, s[60:61]
	s_andn2_b64 vcc, s[62:63], exec
	s_and_b64 s[62:63], s[64:65], exec
	s_or_b64 s[62:63], vcc, s[62:63]
	s_andn2_b64 exec, exec, s[60:61]
	s_cbranch_execz .LBB16_141
.LBB16_137:                             ;   Parent Loop BB16_81 Depth=1
                                        ;     Parent Loop BB16_86 Depth=2
                                        ; =>    This Inner Loop Header: Depth=3
	s_add_i32 s78, s78, 1
	s_cmpk_lg_i32 s78, 0x2710
	s_cselect_b64 s[66:67], -1, 0
	s_and_b64 vcc, exec, s[66:67]
                                        ; implicit-def: $sgpr68_sgpr69
	s_cbranch_vccnz .LBB16_139
; %bb.138:                              ;   in Loop: Header=BB16_137 Depth=3
	s_trap 2
	ds_read_b64 v[2:3], v0
	s_andn2_b64 s[66:67], s[66:67], exec
	s_mov_b32 s78, 0
	s_mov_b64 s[68:69], -1
	s_waitcnt lgkmcnt(0)
	flat_load_dword v1, v[2:3] glc
	s_waitcnt vmcnt(0) lgkmcnt(0)
	buffer_invl2
	buffer_wbinvl1_vol
	v_cmp_eq_u32_e32 vcc, 0, v1
	s_and_b64 vcc, vcc, exec
	s_or_b64 s[66:67], s[66:67], vcc
.LBB16_139:                             ;   in Loop: Header=BB16_137 Depth=3
	s_andn2_b64 s[64:65], s[64:65], exec
	s_and_b64 s[68:69], s[68:69], exec
	s_mov_b64 vcc, -1
	s_or_b64 s[64:65], s[64:65], s[68:69]
	s_and_saveexec_b64 s[68:69], s[66:67]
	s_cbranch_execz .LBB16_136
; %bb.140:                              ;   in Loop: Header=BB16_137 Depth=3
	s_sleep 1
	s_trap 2
	ds_read_b64 v[2:3], v0
	s_andn2_b64 s[64:65], s[64:65], exec
	s_waitcnt lgkmcnt(0)
	v_cmp_ge_u64_e32 vcc, v[2:3], v[34:35]
	s_orn2_b64 vcc, vcc, exec
	s_branch .LBB16_136
.LBB16_141:                             ;   in Loop: Header=BB16_86 Depth=2
	s_or_b64 exec, exec, s[60:61]
	s_and_saveexec_b64 vcc, s[62:63]
	s_xor_b64 vcc, exec, vcc
	s_cbranch_execz .LBB16_143
; %bb.142:                              ;   in Loop: Header=BB16_86 Depth=2
	ds_write_b32 v0, v53
	s_trap 2
.LBB16_143:                             ;   in Loop: Header=BB16_86 Depth=2
	s_or_b64 exec, exec, s[36:37]
	;;#ASMSTART
	s_wakeup
	;;#ASMEND
.LBB16_144:                             ;   in Loop: Header=BB16_86 Depth=2
	s_or_b64 exec, exec, s[34:35]
.LBB16_145:                             ;   in Loop: Header=BB16_86 Depth=2
	s_andn2_saveexec_b64 vcc, s[30:31]
	s_cbranch_execz .LBB16_147
; %bb.146:                              ;   in Loop: Header=BB16_86 Depth=2
	s_waitcnt vmcnt(0) lgkmcnt(0)
	buffer_wbinvl1_vol
	s_barrier
.LBB16_147:                             ;   in Loop: Header=BB16_86 Depth=2
	s_or_b64 exec, exec, vcc
.LBB16_148:                             ;   in Loop: Header=BB16_86 Depth=2
	s_or_b64 exec, exec, s[28:29]
	s_trap 2
	s_waitcnt lgkmcnt(0)
	ds_read_b64 v[2:3], v0
	v_mov_b32_e32 v59, 0
	s_waitcnt lgkmcnt(0)
	v_readfirstlane_b32 s28, v2
	v_readfirstlane_b32 s29, v3
	s_cmp_eq_u64 s[28:29], 0
	s_cselect_b64 s[28:29], -1, 0
	s_or_b64 s[28:29], s[28:29], s[28:29]
	s_and_b64 vcc, exec, s[28:29]
	s_cbranch_vccnz .LBB16_157
; %bb.149:                              ;   in Loop: Header=BB16_86 Depth=2
	s_trap 2
	ds_read_b64 v[2:3], v0
	v_cmp_eq_u32_e64 s[28:29], 0, v0
	v_cndmask_b32_e64 v59, 0, v58, s[28:29]
	s_waitcnt lgkmcnt(0)
	v_cmp_ne_u64_e32 vcc, 0, v[2:3]
	s_cbranch_vccz .LBB16_169
; %bb.150:                              ;   in Loop: Header=BB16_86 Depth=2
	s_mov_b64 s[30:31], -1
	s_and_saveexec_b64 s[28:29], s[18:19]
	s_cbranch_execz .LBB16_152
; %bb.151:                              ;   in Loop: Header=BB16_86 Depth=2
	ds_read_b32 v0, v0 offset:720
	s_waitcnt lgkmcnt(0)
	v_and_b32_e32 v0, 15, v0
	v_cmp_eq_u32_e32 vcc, 0, v0
	s_orn2_b64 s[30:31], vcc, exec
.LBB16_152:                             ;   in Loop: Header=BB16_86 Depth=2
	s_or_b64 exec, exec, s[28:29]
	s_and_saveexec_b64 s[28:29], s[20:21]
	s_cbranch_execz .LBB16_154
; %bb.153:                              ;   in Loop: Header=BB16_86 Depth=2
	ds_read_b32 v0, v0 offset:784
	s_waitcnt lgkmcnt(0)
	v_and_b32_e32 v0, 15, v0
	v_cmp_eq_u32_e32 vcc, 0, v0
	s_and_b64 vcc, s[30:31], vcc
	s_andn2_b64 s[30:31], s[30:31], exec
	s_and_b64 vcc, vcc, exec
	s_or_b64 s[30:31], s[30:31], vcc
.LBB16_154:                             ;   in Loop: Header=BB16_86 Depth=2
	s_or_b64 exec, exec, s[28:29]
	s_xor_b64 vcc, s[30:31], -1
	v_cndmask_b32_e64 v0, 0, 1, vcc
	s_mov_b64 s[28:29], -1
	;;#ASMSTART
	;;#ASMEND
	v_cmp_ne_u32_e32 vcc, 0, v0
	v_mov_b32_e32 v36, 0
	v_mov_b32_e32 v23, v59
	;; [unrolled: 1-line block ×4, first 2 shown]
	s_cbranch_vccz .LBB16_170
; %bb.155:                              ;   in Loop: Header=BB16_86 Depth=2
	s_and_saveexec_b64 s[34:35], s[28:29]
	s_cbranch_execnz .LBB16_185
.LBB16_156:                             ;   in Loop: Header=BB16_86 Depth=2
	s_or_b64 exec, exec, s[34:35]
.LBB16_157:                             ;   in Loop: Header=BB16_86 Depth=2
	s_and_saveexec_b64 s[28:29], s[10:11]
	s_cbranch_execz .LBB16_232
.LBB16_158:                             ;   in Loop: Header=BB16_86 Depth=2
	s_and_saveexec_b64 vcc, s[46:47]
	s_xor_b64 s[30:31], exec, vcc
	s_cbranch_execz .LBB16_229
; %bb.159:                              ;   in Loop: Header=BB16_86 Depth=2
	s_and_saveexec_b64 s[34:35], s[16:17]
	s_cbranch_execz .LBB16_228
; %bb.160:                              ;   in Loop: Header=BB16_86 Depth=2
	s_mov_b64 s[60:61], exec
	v_mbcnt_lo_u32_b32 v0, s60, 0
	v_mbcnt_hi_u32_b32 v0, s61, v0
	v_cmp_eq_u32_e32 vcc, 0, v0
	s_waitcnt vmcnt(0) lgkmcnt(0)
	buffer_wbinvl1_vol
	s_and_saveexec_b64 s[36:37], vcc
	s_cbranch_execz .LBB16_162
; %bb.161:                              ;   in Loop: Header=BB16_86 Depth=2
	s_bcnt1_i32_b64 vcc_lo, s[60:61]
	v_mov_b32_e32 v20, vcc_lo
	ds_add_u64 v0, v[20:21]
	s_trap 2
.LBB16_162:                             ;   in Loop: Header=BB16_86 Depth=2
	s_or_b64 exec, exec, s[36:37]
	s_trap 2
	ds_read_b64 v[0:1], v0
	v_add_co_u32_e32 v34, vcc, v34, v42
	v_addc_co_u32_e32 v35, vcc, 0, v35, vcc
	s_waitcnt lgkmcnt(0)
	v_cmp_lt_u64_e32 vcc, v[0:1], v[34:35]
	s_and_saveexec_b64 s[36:37], vcc
	s_cbranch_execz .LBB16_227
; %bb.163:                              ;   in Loop: Header=BB16_86 Depth=2
	s_mov_b32 s78, 0
	s_mov_b64 s[60:61], 0
                                        ; implicit-def: $sgpr62_sgpr63
                                        ; implicit-def: $sgpr64_sgpr65
	s_branch .LBB16_165
.LBB16_164:                             ;   in Loop: Header=BB16_165 Depth=3
	s_or_b64 exec, exec, s[68:69]
	s_and_b64 vcc, exec, vcc
	s_or_b64 s[60:61], vcc, s[60:61]
	s_andn2_b64 vcc, s[62:63], exec
	s_and_b64 s[62:63], s[64:65], exec
	s_or_b64 s[62:63], vcc, s[62:63]
	s_andn2_b64 exec, exec, s[60:61]
	s_cbranch_execz .LBB16_225
.LBB16_165:                             ;   Parent Loop BB16_81 Depth=1
                                        ;     Parent Loop BB16_86 Depth=2
                                        ; =>    This Inner Loop Header: Depth=3
	s_add_i32 s78, s78, 1
	s_cmpk_lg_i32 s78, 0x2710
	s_cselect_b64 s[66:67], -1, 0
	s_and_b64 vcc, exec, s[66:67]
                                        ; implicit-def: $sgpr68_sgpr69
	s_cbranch_vccnz .LBB16_167
; %bb.166:                              ;   in Loop: Header=BB16_165 Depth=3
	s_trap 2
	ds_read_b64 v[0:1], v0
	s_andn2_b64 s[66:67], s[66:67], exec
	s_mov_b32 s78, 0
	s_mov_b64 s[68:69], -1
	s_waitcnt lgkmcnt(0)
	flat_load_dword v0, v[0:1] glc
	s_waitcnt vmcnt(0) lgkmcnt(0)
	buffer_invl2
	buffer_wbinvl1_vol
	v_cmp_eq_u32_e32 vcc, 0, v0
	s_and_b64 vcc, vcc, exec
	s_or_b64 s[66:67], s[66:67], vcc
.LBB16_167:                             ;   in Loop: Header=BB16_165 Depth=3
	s_andn2_b64 s[64:65], s[64:65], exec
	s_and_b64 s[68:69], s[68:69], exec
	s_mov_b64 vcc, -1
	s_or_b64 s[64:65], s[64:65], s[68:69]
	s_and_saveexec_b64 s[68:69], s[66:67]
	s_cbranch_execz .LBB16_164
; %bb.168:                              ;   in Loop: Header=BB16_165 Depth=3
	s_sleep 1
	s_trap 2
	ds_read_b64 v[0:1], v0
	s_andn2_b64 s[64:65], s[64:65], exec
	s_waitcnt lgkmcnt(0)
	v_cmp_ge_u64_e32 vcc, v[0:1], v[34:35]
	s_orn2_b64 vcc, vcc, exec
	s_branch .LBB16_164
.LBB16_169:                             ;   in Loop: Header=BB16_86 Depth=2
	s_cbranch_execnz .LBB16_196
	s_branch .LBB16_157
.LBB16_170:                             ;   in Loop: Header=BB16_86 Depth=2
	v_ashrrev_i32_e32 v0, 31, v59
	v_lshrrev_b32_e32 v0, 20, v0
	v_add_u32_e32 v0, v59, v0
	v_ashrrev_i32_e32 v0, 12, v0
	v_sub_u32_e32 v1, v0, v43
	v_cmp_lt_i32_e32 vcc, 0, v1
	s_and_saveexec_b64 s[28:29], vcc
	s_cbranch_execz .LBB16_174
; %bb.171:                              ;   in Loop: Header=BB16_86 Depth=2
	s_trap 2
	ds_read_b64 v[2:3], v0
	ds_read_b128 v[10:13], v0
	v_accvgpr_read_b32 v7, a49
	s_mov_b64 s[30:31], 0
	s_waitcnt vmcnt(0) lgkmcnt(0)
	v_add_co_u32_e32 v2, vcc, v2, v16
	v_addc_co_u32_e32 v3, vcc, v3, v7, vcc
	s_waitcnt lgkmcnt(0)
	v_add_co_u32_e32 v4, vcc, v10, v16
	v_addc_co_u32_e32 v5, vcc, v11, v7, vcc
	v_add_co_u32_e32 v14, vcc, v12, v16
	v_addc_co_u32_e32 v15, vcc, v13, v7, vcc
.LBB16_172:                             ;   Parent Loop BB16_81 Depth=1
                                        ;     Parent Loop BB16_86 Depth=2
                                        ; =>    This Inner Loop Header: Depth=3
	global_load_dwordx4 v[10:13], v[2:3], off glc slc
	global_load_dwordx4 v[16:19], v[2:3], off offset:1024 glc slc
	global_load_dwordx4 v[22:25], v[2:3], off offset:2048 glc slc
	;; [unrolled: 1-line block ×3, first 2 shown]
	v_add_co_u32_e32 v2, vcc, v2, v52
	v_addc_co_u32_e32 v3, vcc, v3, v50, vcc
	v_sub_u32_e32 v1, v1, v42
	v_cmp_gt_i32_e32 vcc, 1, v1
	s_or_b64 s[30:31], vcc, s[30:31]
	s_waitcnt vmcnt(3)
	global_store_dwordx4 v[4:5], v[10:13], off glc slc
	s_waitcnt vmcnt(3)
	global_store_dwordx4 v[4:5], v[16:19], off offset:1024 glc slc
	s_waitcnt vmcnt(3)
	global_store_dwordx4 v[4:5], v[22:25], off offset:2048 glc slc
	;; [unrolled: 2-line block ×3, first 2 shown]
	global_store_dwordx4 v[14:15], v[10:13], off glc slc
	global_store_dwordx4 v[14:15], v[16:19], off offset:1024 glc slc
	global_store_dwordx4 v[14:15], v[22:25], off offset:2048 glc slc
	global_store_dwordx4 v[14:15], v[30:33], off offset:3072 glc slc
	v_add_co_u32_e32 v4, vcc, v4, v52
	v_addc_co_u32_e32 v5, vcc, v5, v50, vcc
	v_add_co_u32_e32 v14, vcc, v14, v52
	v_addc_co_u32_e32 v15, vcc, v15, v50, vcc
	s_andn2_b64 exec, exec, s[30:31]
	s_cbranch_execnz .LBB16_172
; %bb.173:                              ;   in Loop: Header=BB16_86 Depth=2
	s_or_b64 exec, exec, s[30:31]
	buffer_load_dword v16, off, s[0:3], s33 offset:152 ; 4-byte Folded Reload
	buffer_load_dword v17, off, s[0:3], s33 offset:156 ; 4-byte Folded Reload
	v_accvgpr_read_b32 v24, a36
	v_accvgpr_read_b32 v30, a38
	;; [unrolled: 1-line block ×7, first 2 shown]
.LBB16_174:                             ;   in Loop: Header=BB16_86 Depth=2
	s_or_b64 exec, exec, s[28:29]
	v_lshlrev_b32_e32 v0, 12, v0
	v_cmp_ne_u32_e32 vcc, v59, v0
	s_mov_b64 s[28:29], 0
	v_mov_b32_e32 v36, 0
                                        ; implicit-def: $vgpr23
                                        ; implicit-def: $vgpr48
                                        ; implicit-def: $vgpr2
	s_and_saveexec_b64 s[60:61], vcc
	s_cbranch_execz .LBB16_184
; %bb.175:                              ;   in Loop: Header=BB16_86 Depth=2
	v_lshlrev_b32_e32 v1, 6, v1
	v_accvgpr_read_b32 v2, a43
	v_sub_u32_e32 v1, v2, v1
	v_sub_u32_e32 v3, v59, v0
	v_ashrrev_i32_e32 v2, 31, v1
	v_lshrrev_b32_e32 v2, 26, v2
	v_ashrrev_i32_e32 v5, 31, v3
	v_add_u32_e32 v2, v1, v2
	v_lshrrev_b32_e32 v5, 22, v5
	v_ashrrev_i32_e32 v4, 6, v2
	v_and_b32_e32 v2, 0xffffffc0, v2
	v_add_u32_e32 v5, v3, v5
	v_sub_u32_e32 v1, v1, v2
	v_and_b32_e32 v12, 0xfffffc00, v5
	v_lshlrev_b32_e32 v2, 4, v1
	v_sub_u32_e32 v13, v3, v12
	v_lshl_add_u32 v2, v4, 10, v2
	v_ashrrev_i32_e32 v7, 10, v5
	v_cmp_lt_i32_e64 s[28:29], 15, v13
	v_sub_u32_e32 v18, v3, v2
	v_addc_co_u32_e64 v3, vcc, 0, v7, s[28:29]
	v_sub_u32_e32 v7, v3, v4
	v_cmp_lt_i32_e32 vcc, 15, v18
	s_and_saveexec_b64 s[62:63], vcc
	s_cbranch_execz .LBB16_181
; %bb.176:                              ;   in Loop: Header=BB16_86 Depth=2
	s_trap 2
	ds_read_b64 v[10:11], v0
	v_add_u32_e32 v14, v2, v0
	ds_read_b128 v[2:5], v0
	v_ashrrev_i32_e32 v15, 31, v14
	s_mov_b64 s[64:65], 0
	s_waitcnt lgkmcnt(0)
	v_add_co_u32_e32 v22, vcc, v10, v14
	v_addc_co_u32_e32 v23, vcc, v11, v15, vcc
	s_waitcnt lgkmcnt(0)
	v_add_co_u32_e32 v2, vcc, v2, v14
	v_addc_co_u32_e32 v3, vcc, v3, v15, vcc
	v_add_co_u32_e32 v4, vcc, v4, v14
	v_addc_co_u32_e32 v5, vcc, v5, v15, vcc
.LBB16_177:                             ;   Parent Loop BB16_81 Depth=1
                                        ;     Parent Loop BB16_86 Depth=2
                                        ; =>    This Loop Header: Depth=3
                                        ;         Child Loop BB16_178 Depth 4
	global_load_dwordx4 v[14:17], v[22:23], off glc slc
	s_mov_b64 s[68:69], -1
	s_mov_b64 s[66:67], 0
	s_waitcnt vmcnt(0)
.LBB16_178:                             ;   Parent Loop BB16_81 Depth=1
                                        ;     Parent Loop BB16_86 Depth=2
                                        ;       Parent Loop BB16_177 Depth=3
                                        ; =>      This Inner Loop Header: Depth=4
	s_cmp_eq_u32 s66, 0
	s_cselect_b64 s[30:31], -1, 0
	s_cmp_eq_u32 s66, 1
	v_cndmask_b32_e64 v10, 0, 1, s[68:69]
	s_cselect_b64 s[36:37], -1, 0
	v_cmp_ne_u32_e64 s[34:35], 1, v10
	v_cndmask_b32_e64 v11, v3, v5, s[36:37]
	v_cndmask_b32_e64 v10, v2, v4, s[36:37]
	global_store_dwordx4 v[10:11], v[14:17], off glc slc
	v_add_co_u32_e32 v10, vcc, 0x400, v10
	v_addc_co_u32_e32 v11, vcc, 0, v11, vcc
	s_mov_b64 s[68:69], 0
	s_mov_b64 s[66:67], 1
	v_cndmask_b32_e64 v4, v4, v10, s[36:37]
	s_and_b64 vcc, exec, s[34:35]
	v_cndmask_b32_e64 v5, v5, v11, s[36:37]
	v_cndmask_b32_e64 v3, v3, v11, s[30:31]
	;; [unrolled: 1-line block ×3, first 2 shown]
	s_cbranch_vccz .LBB16_178
; %bb.179:                              ;   in Loop: Header=BB16_177 Depth=3
	v_add_co_u32_e32 v2, vcc, v2, v30
	v_addc_co_u32_e32 v3, vcc, v3, v31, vcc
	v_add_co_u32_e32 v4, vcc, v4, v30
	v_addc_co_u32_e32 v5, vcc, v5, v31, vcc
	;; [unrolled: 2-line block ×3, first 2 shown]
	v_sub_u32_e32 v18, v18, v55
	v_cmp_gt_i32_e32 vcc, 16, v18
	s_or_b64 s[64:65], vcc, s[64:65]
	v_sub_u32_e32 v7, v7, v42
	s_andn2_b64 exec, exec, s[64:65]
	s_cbranch_execnz .LBB16_177
; %bb.180:                              ;   in Loop: Header=BB16_86 Depth=2
	s_or_b64 exec, exec, s[64:65]
	buffer_load_dword v16, off, s[0:3], s33 offset:152 ; 4-byte Folded Reload
	buffer_load_dword v17, off, s[0:3], s33 offset:156 ; 4-byte Folded Reload
.LBB16_181:                             ;   in Loop: Header=BB16_86 Depth=2
	s_or_b64 exec, exec, s[62:63]
	v_and_b32_e32 v3, 15, v59
	v_cndmask_b32_e64 v23, v13, v3, s[28:29]
	v_cmp_ne_u32_e32 vcc, 0, v23
	s_mov_b64 s[30:31], 0
	v_mov_b32_e32 v36, 0
                                        ; implicit-def: $vgpr48
                                        ; implicit-def: $vgpr2
	s_and_saveexec_b64 s[34:35], vcc
	s_cbranch_execz .LBB16_183
; %bb.182:                              ;   in Loop: Header=BB16_86 Depth=2
	v_sub_u32_e32 v2, v13, v3
	v_cndmask_b32_e64 v2, 0, v2, s[28:29]
	v_cmp_lt_i32_e32 vcc, 0, v7
	v_add3_u32 v36, v12, v0, v2
	v_cndmask_b32_e32 v0, 0, v42, vcc
	v_sub_u32_e32 v0, v0, v7
	v_lshl_add_u32 v48, v0, 6, v1
	v_ashrrev_i32_e32 v0, 31, v48
	v_lshrrev_b32_e32 v0, 26, v0
	v_add_u32_e32 v0, v48, v0
	s_mov_b64 s[30:31], exec
	v_ashrrev_i32_e32 v2, 6, v0
.LBB16_183:                             ;   in Loop: Header=BB16_86 Depth=2
	s_or_b64 exec, exec, s[34:35]
	s_and_b64 s[28:29], s[30:31], exec
	v_accvgpr_read_b32 v13, a48
.LBB16_184:                             ;   in Loop: Header=BB16_86 Depth=2
	s_or_b64 exec, exec, s[60:61]
	s_and_saveexec_b64 s[34:35], s[28:29]
	s_cbranch_execz .LBB16_156
.LBB16_185:                             ;   in Loop: Header=BB16_86 Depth=2
	v_ashrrev_i32_e32 v0, 31, v23
	v_lshrrev_b32_e32 v0, 21, v0
	v_add_u32_e32 v0, v23, v0
	v_ashrrev_i32_e32 v20, 11, v0
	v_sub_u32_e32 v18, v20, v2
	v_ashrrev_i32_e32 v0, 31, v48
	v_cmp_lt_i32_e32 vcc, 0, v18
	v_lshrrev_b32_e32 v37, 26, v0
	s_and_saveexec_b64 s[28:29], vcc
	s_cbranch_execz .LBB16_189
; %bb.186:                              ;   in Loop: Header=BB16_86 Depth=2
	v_add_u32_e32 v0, v48, v37
	v_and_b32_e32 v0, 0xffffffc0, v0
	s_trap 2
	v_sub_u32_e32 v3, v48, v0
	ds_read_b64 v[0:1], v0
	v_lshlrev_b32_e32 v2, 11, v2
	v_add3_u32 v7, v36, v3, v2
	v_ashrrev_i32_e32 v15, 31, v7
	v_accvgpr_write_b32 a30, v34
	s_waitcnt lgkmcnt(0)
	ds_read_b128 v[10:13], v0
	v_accvgpr_write_b32 a31, v35
	s_mov_b64 s[30:31], 0
	v_mov_b32_e32 v22, v42
	s_waitcnt lgkmcnt(0)
	v_add_co_u32_e32 v2, vcc, v10, v7
	v_addc_co_u32_e32 v3, vcc, v11, v15, vcc
	v_add_co_u32_e32 v4, vcc, v12, v7
	v_addc_co_u32_e32 v5, vcc, v13, v15, vcc
	;; [unrolled: 2-line block ×4, first 2 shown]
.LBB16_187:                             ;   Parent Loop BB16_81 Depth=1
                                        ;     Parent Loop BB16_86 Depth=2
                                        ; =>    This Inner Loop Header: Depth=3
	s_waitcnt vmcnt(0)
	v_add_co_u32_e32 v16, vcc, 0xfffff840, v14
	s_waitcnt vmcnt(0)
	v_addc_co_u32_e32 v17, vcc, -1, v15, vcc
	v_add_co_u32_e32 v0, vcc, 0xfffff880, v14
	v_addc_co_u32_e32 v1, vcc, -1, v15, vcc
	v_add_co_u32_e32 v10, vcc, 0xfffff8c0, v14
	v_addc_co_u32_e32 v11, vcc, -1, v15, vcc
	flat_load_ubyte v16, v[16:17] glc slc
	v_sub_u32_e32 v18, v18, v22
	flat_load_ubyte v17, v[0:1] glc slc
	v_add_co_u32_e32 v0, vcc, 0xfffff900, v14
	v_addc_co_u32_e32 v1, vcc, -1, v15, vcc
	flat_load_ubyte v47, v[10:11] glc slc
	v_add_co_u32_e32 v10, vcc, 0xfffff940, v14
	v_addc_co_u32_e32 v11, vcc, -1, v15, vcc
	;; [unrolled: 3-line block ×6, first 2 shown]
	v_add_co_u32_e32 v12, vcc, 0xfffffa80, v14
	v_addc_co_u32_e32 v13, vcc, -1, v15, vcc
	flat_load_ubyte v54, v[0:1] glc slc
	flat_load_ubyte v44, v[12:13] glc slc
	;; [unrolled: 1-line block ×3, first 2 shown]
	s_nop 0
	flat_load_ubyte v1, v[10:11] glc slc
	v_add_co_u32_e32 v10, vcc, 0xfffffac0, v14
	v_addc_co_u32_e32 v11, vcc, -1, v15, vcc
	v_add_co_u32_e32 v12, vcc, 0xfffffb00, v14
	v_addc_co_u32_e32 v13, vcc, -1, v15, vcc
	flat_load_ubyte v0, v[10:11] glc slc
	v_add_co_u32_e32 v10, vcc, 0xfffffb40, v14
	v_addc_co_u32_e32 v11, vcc, -1, v15, vcc
	flat_load_ubyte v45, v[12:13] glc slc
	;; [unrolled: 3-line block ×5, first 2 shown]
	v_add_co_u32_e32 v10, vcc, 0xfffffc40, v14
	v_addc_co_u32_e32 v11, vcc, -1, v15, vcc
	v_add_co_u32_e32 v24, vcc, 0xfffffc80, v14
	v_addc_co_u32_e32 v25, vcc, -1, v15, vcc
	flat_load_ubyte v35, v[12:13] glc slc
	s_nop 0
	flat_load_ubyte v12, v[10:11] glc slc
	v_add_co_u32_e32 v10, vcc, 0xfffffcc0, v14
	v_addc_co_u32_e32 v11, vcc, -1, v15, vcc
	flat_load_ubyte v13, v[24:25] glc slc
	v_add_co_u32_e32 v24, vcc, 0xfffffd00, v14
	v_addc_co_u32_e32 v25, vcc, -1, v15, vcc
	;; [unrolled: 3-line block ×3, first 2 shown]
	v_add_co_u32_e32 v32, vcc, 0xfffffd80, v14
	v_addc_co_u32_e32 v33, vcc, -1, v15, vcc
	flat_load_ubyte v40, v[10:11] glc slc
	v_add_co_u32_e32 v10, vcc, 0xfffffdc0, v14
	v_addc_co_u32_e32 v11, vcc, -1, v15, vcc
	flat_load_ubyte v55, v[32:33] glc slc
	;; [unrolled: 3-line block ×4, first 2 shown]
	v_add_co_u32_e32 v32, vcc, 0xfffffe80, v14
	flat_load_ubyte v25, v[24:25] glc slc
	v_addc_co_u32_e32 v33, vcc, -1, v15, vcc
	flat_load_ubyte v24, v[10:11] glc slc
	v_add_co_u32_e32 v10, vcc, 0xfffffec0, v14
	v_addc_co_u32_e32 v11, vcc, -1, v15, vcc
	flat_load_ubyte v46, v[32:33] glc slc
	v_add_co_u32_e32 v32, vcc, 0xffffff00, v14
	;; [unrolled: 3-line block ×3, first 2 shown]
	v_addc_co_u32_e32 v11, vcc, -1, v15, vcc
	v_add_co_u32_e32 v60, vcc, 0xffffff80, v14
	flat_load_ubyte v32, v[32:33] glc slc
	v_addc_co_u32_e32 v61, vcc, -1, v15, vcc
	flat_load_ubyte v33, v[10:11] glc slc
	v_add_co_u32_e32 v10, vcc, s71, v14
	flat_load_ubyte v49, v[60:61] glc slc
	v_addc_co_u32_e32 v11, vcc, -1, v15, vcc
	flat_load_ubyte v10, v[10:11] glc slc
	v_cmp_gt_i32_e32 vcc, 1, v18
	s_or_b64 s[30:31], vcc, s[30:31]
	v_add_co_u32_e32 v14, vcc, v14, v8
	v_addc_co_u32_e32 v15, vcc, v15, v9, vcc
	s_waitcnt vmcnt(0) lgkmcnt(0)
	flat_store_byte v[2:3], v53 offset:1984 glc slc
	flat_store_byte v[2:3], v16 glc slc
	flat_store_byte v[2:3], v17 offset:64 glc slc
	flat_store_byte v[2:3], v47 offset:128 glc slc
	;; [unrolled: 1-line block ×30, first 2 shown]
	flat_store_byte v[4:5], v16 glc slc
	flat_store_byte v[4:5], v17 offset:64 glc slc
	flat_store_byte v[4:5], v47 offset:128 glc slc
	;; [unrolled: 1-line block ×31, first 2 shown]
	v_add_co_u32_e32 v2, vcc, v2, v8
	v_addc_co_u32_e32 v3, vcc, v3, v9, vcc
	v_add_co_u32_e32 v4, vcc, v4, v8
	v_addc_co_u32_e32 v5, vcc, v5, v9, vcc
	s_andn2_b64 exec, exec, s[30:31]
	s_cbranch_execnz .LBB16_187
; %bb.188:                              ;   in Loop: Header=BB16_86 Depth=2
	s_or_b64 exec, exec, s[30:31]
	buffer_load_dword v16, off, s[0:3], s33 offset:152 ; 4-byte Folded Reload
	buffer_load_dword v17, off, s[0:3], s33 offset:156 ; 4-byte Folded Reload
	v_accvgpr_read_b32 v41, a21
	v_accvgpr_read_b32 v45, a25
	;; [unrolled: 1-line block ×10, first 2 shown]
	v_mov_b32_e32 v42, v22
	v_accvgpr_read_b32 v34, a30
	v_accvgpr_read_b32 v51, a28
	v_mov_b32_e32 v53, 1
	v_accvgpr_read_b32 v55, a35
	v_accvgpr_read_b32 v24, a36
	;; [unrolled: 1-line block ×11, first 2 shown]
.LBB16_189:                             ;   in Loop: Header=BB16_86 Depth=2
	s_or_b64 exec, exec, s[28:29]
	v_lshlrev_b32_e32 v0, 11, v20
	v_cmp_ne_u32_e32 vcc, v23, v0
	s_and_saveexec_b64 s[36:37], vcc
	s_cbranch_execz .LBB16_195
; %bb.190:                              ;   in Loop: Header=BB16_86 Depth=2
	v_add_u32_e32 v1, v48, v37
	v_and_b32_e32 v1, 0xffffffc0, v1
	v_sub_u32_e32 v1, v48, v1
	v_lshlrev_b32_e32 v2, 6, v18
	v_sub_u32_e32 v1, v1, v2
	v_add_u32_e32 v1, v0, v1
	v_sub_u32_e32 v0, v23, v1
	v_cmp_lt_i32_e32 vcc, 0, v0
	s_and_b64 exec, exec, vcc
	s_cbranch_execz .LBB16_195
; %bb.191:                              ;   in Loop: Header=BB16_86 Depth=2
	s_trap 2
	ds_read_b64 v[10:11], v0
	ds_read_b128 v[2:5], v0
	v_add_u32_e32 v1, v1, v36
	v_ashrrev_i32_e32 v7, 31, v1
	s_mov_b64 s[60:61], 0
	s_waitcnt lgkmcnt(0)
	v_add_co_u32_e32 v14, vcc, v10, v1
	v_addc_co_u32_e32 v15, vcc, v11, v7, vcc
	v_add_co_u32_e32 v2, vcc, v2, v1
	v_addc_co_u32_e32 v3, vcc, v3, v7, vcc
	;; [unrolled: 2-line block ×3, first 2 shown]
.LBB16_192:                             ;   Parent Loop BB16_81 Depth=1
                                        ;     Parent Loop BB16_86 Depth=2
                                        ; =>    This Loop Header: Depth=3
                                        ;         Child Loop BB16_193 Depth 4
	flat_load_ubyte v1, v[14:15] glc slc
	s_mov_b64 s[62:63], -1
	s_mov_b64 s[64:65], 0
	s_waitcnt vmcnt(0)
.LBB16_193:                             ;   Parent Loop BB16_81 Depth=1
                                        ;     Parent Loop BB16_86 Depth=2
                                        ;       Parent Loop BB16_192 Depth=3
                                        ; =>      This Inner Loop Header: Depth=4
	s_cmp_eq_u32 s64, 1
	s_cselect_b64 vcc, -1, 0
	v_cndmask_b32_e32 v10, v2, v4, vcc
	v_cndmask_b32_e32 v11, v3, v5, vcc
	v_add_co_u32_e64 v7, s[28:29], 64, v10
	s_cmp_eq_u32 s64, 0
	s_waitcnt lgkmcnt(0)
	flat_store_byte v[10:11], v1 glc slc
	v_addc_co_u32_e64 v10, s[28:29], 0, v11, s[28:29]
	s_cselect_b64 s[28:29], -1, 0
	s_and_b64 s[30:31], exec, s[62:63]
	s_mov_b64 s[64:65], 1
	s_mov_b64 s[62:63], 0
	v_cndmask_b32_e32 v5, v5, v10, vcc
	v_cndmask_b32_e32 v4, v4, v7, vcc
	v_cndmask_b32_e64 v3, v3, v10, s[28:29]
	v_cndmask_b32_e64 v2, v2, v7, s[28:29]
	s_mov_b64 vcc, s[30:31]
	s_cbranch_vccnz .LBB16_193
; %bb.194:                              ;   in Loop: Header=BB16_192 Depth=3
	v_add_co_u32_e32 v2, vcc, v2, v24
	v_addc_co_u32_e32 v3, vcc, v3, v25, vcc
	v_add_co_u32_e32 v4, vcc, v4, v24
	v_addc_co_u32_e32 v5, vcc, v5, v25, vcc
	v_sub_u32_e32 v0, v0, v51
	v_cmp_gt_i32_e32 vcc, 1, v0
	s_or_b64 s[60:61], vcc, s[60:61]
	v_add_co_u32_e32 v14, vcc, v57, v14
	v_addc_co_u32_e32 v15, vcc, v60, v15, vcc
	s_andn2_b64 exec, exec, s[60:61]
	s_cbranch_execnz .LBB16_192
.LBB16_195:                             ;   in Loop: Header=BB16_86 Depth=2
	s_or_b64 exec, exec, s[36:37]
	s_or_b64 exec, exec, s[34:35]
	s_branch .LBB16_157
.LBB16_196:                             ;   in Loop: Header=BB16_86 Depth=2
	s_mov_b64 s[28:29], -1
	s_and_saveexec_b64 s[30:31], s[18:19]
	s_cbranch_execz .LBB16_198
; %bb.197:                              ;   in Loop: Header=BB16_86 Depth=2
	ds_read_b32 v0, v0 offset:720
	s_waitcnt lgkmcnt(0)
	v_and_b32_e32 v0, 15, v0
	v_cmp_eq_u32_e32 vcc, 0, v0
	s_orn2_b64 s[28:29], vcc, exec
.LBB16_198:                             ;   in Loop: Header=BB16_86 Depth=2
	s_or_b64 exec, exec, s[30:31]
	s_and_saveexec_b64 s[30:31], s[18:19]
	s_cbranch_execz .LBB16_200
; %bb.199:                              ;   in Loop: Header=BB16_86 Depth=2
	ds_read_b32 v0, v0 offset:784
	s_waitcnt lgkmcnt(0)
	v_and_b32_e32 v0, 15, v0
	v_cmp_eq_u32_e32 vcc, 0, v0
	s_and_b64 vcc, s[28:29], vcc
	s_andn2_b64 s[28:29], s[28:29], exec
	s_and_b64 vcc, vcc, exec
	s_or_b64 s[28:29], s[28:29], vcc
.LBB16_200:                             ;   in Loop: Header=BB16_86 Depth=2
	s_or_b64 exec, exec, s[30:31]
	s_xor_b64 s[28:29], s[28:29], -1
	v_cndmask_b32_e64 v0, 0, 1, s[28:29]
	s_mov_b64 s[34:35], -1
	;;#ASMSTART
	;;#ASMEND
	v_cmp_ne_u32_e32 vcc, 0, v0
	v_mov_b32_e32 v18, 0
	v_mov_b32_e32 v19, v59
	v_mov_b32_e32 v22, v61
	v_mov_b32_e32 v4, v43
	s_cbranch_vccz .LBB16_203
; %bb.201:                              ;   in Loop: Header=BB16_86 Depth=2
	s_and_saveexec_b64 s[28:29], s[34:35]
	s_cbranch_execnz .LBB16_216
.LBB16_202:                             ;   in Loop: Header=BB16_86 Depth=2
	s_or_b64 exec, exec, s[28:29]
	s_and_saveexec_b64 s[28:29], s[10:11]
	s_cbranch_execz .LBB16_232
	s_branch .LBB16_158
.LBB16_203:                             ;   in Loop: Header=BB16_86 Depth=2
	v_ashrrev_i32_e32 v0, 31, v59
	v_lshrrev_b32_e32 v0, 20, v0
	v_add_u32_e32 v0, v59, v0
	v_ashrrev_i32_e32 v0, 12, v0
	v_sub_u32_e32 v1, v0, v43
	v_cmp_lt_i32_e32 vcc, 0, v1
	s_and_saveexec_b64 s[28:29], vcc
	s_cbranch_execz .LBB16_207
; %bb.204:                              ;   in Loop: Header=BB16_86 Depth=2
	s_trap 2
	ds_read_b64 v[2:3], v0
	s_mov_b64 s[30:31], 0
	v_accvgpr_read_b32 v7, a49
	s_waitcnt lgkmcnt(0)
	v_pk_mov_b32 v[4:5], v[2:3], v[2:3] op_sel:[0,1]
.LBB16_205:                             ;   Parent Loop BB16_81 Depth=1
                                        ;     Parent Loop BB16_86 Depth=2
                                        ; =>    This Inner Loop Header: Depth=3
	s_waitcnt vmcnt(0)
	v_add_co_u32_e32 v18, vcc, v16, v4
	v_addc_co_u32_e32 v19, vcc, v7, v5, vcc
	global_load_dwordx4 v[10:13], v[18:19], off glc slc
	global_load_dwordx4 v[14:17], v[18:19], off offset:1024 glc slc
	global_load_dwordx4 v[22:25], v[18:19], off offset:2048 glc slc
	;; [unrolled: 1-line block ×3, first 2 shown]
	s_nop 0
	buffer_load_dword v18, off, s[0:3], s33 offset:152 ; 4-byte Folded Reload
	buffer_load_dword v19, off, s[0:3], s33 offset:156 ; 4-byte Folded Reload
	v_sub_u32_e32 v1, v1, v42
	s_waitcnt vmcnt(1)
	v_add_co_u32_e32 v18, vcc, v18, v2
	s_waitcnt vmcnt(0)
	v_addc_co_u32_e32 v19, vcc, v7, v3, vcc
	global_store_dwordx4 v[18:19], v[10:13], off glc slc
	global_store_dwordx4 v[18:19], v[14:17], off offset:1024 glc slc
	buffer_load_dword v16, off, s[0:3], s33 offset:152 ; 4-byte Folded Reload
	s_nop 0
	buffer_load_dword v17, off, s[0:3], s33 offset:156 ; 4-byte Folded Reload
	v_add_co_u32_e32 v4, vcc, v4, v52
	v_addc_co_u32_e32 v5, vcc, v5, v50, vcc
	v_add_co_u32_e32 v2, vcc, v2, v52
	v_addc_co_u32_e32 v3, vcc, v3, v50, vcc
	v_cmp_gt_i32_e32 vcc, 1, v1
	s_or_b64 s[30:31], vcc, s[30:31]
	global_store_dwordx4 v[18:19], v[22:25], off offset:2048 glc slc
	global_store_dwordx4 v[18:19], v[30:33], off offset:3072 glc slc
	s_andn2_b64 exec, exec, s[30:31]
	s_cbranch_execnz .LBB16_205
; %bb.206:                              ;   in Loop: Header=BB16_86 Depth=2
	s_or_b64 exec, exec, s[30:31]
	v_accvgpr_read_b32 v24, a36
	v_accvgpr_read_b32 v30, a38
	;; [unrolled: 1-line block ×7, first 2 shown]
.LBB16_207:                             ;   in Loop: Header=BB16_86 Depth=2
	s_or_b64 exec, exec, s[28:29]
	v_lshlrev_b32_e32 v0, 12, v0
	v_cmp_ne_u32_e32 vcc, v59, v0
	s_mov_b64 s[34:35], 0
	v_mov_b32_e32 v18, 0
                                        ; implicit-def: $vgpr19
                                        ; implicit-def: $vgpr22
                                        ; implicit-def: $vgpr4
	s_and_saveexec_b64 s[30:31], vcc
	s_cbranch_execz .LBB16_215
; %bb.208:                              ;   in Loop: Header=BB16_86 Depth=2
	v_lshlrev_b32_e32 v1, 6, v1
	v_accvgpr_read_b32 v3, a43
	v_sub_u32_e32 v1, v3, v1
	v_ashrrev_i32_e32 v3, 31, v1
	v_lshrrev_b32_e32 v3, 26, v3
	v_add_u32_e32 v3, v1, v3
	v_ashrrev_i32_e32 v5, 6, v3
	v_and_b32_e32 v3, 0xffffffc0, v3
	v_sub_u32_e32 v1, v1, v3
	v_sub_u32_e32 v2, v59, v0
	v_lshlrev_b32_e32 v3, 4, v1
	v_lshl_add_u32 v4, v5, 10, v3
	v_ashrrev_i32_e32 v3, 31, v2
	v_lshrrev_b32_e32 v3, 22, v3
	v_add_u32_e32 v3, v2, v3
	v_and_b32_e32 v7, 0xfffffc00, v3
	v_sub_u32_e32 v11, v2, v7
	v_ashrrev_i32_e32 v10, 10, v3
	v_cmp_lt_i32_e32 vcc, 15, v11
	v_sub_u32_e32 v12, v2, v4
	v_addc_co_u32_e64 v2, s[28:29], 0, v10, vcc
	v_sub_u32_e32 v10, v2, v5
	v_cmp_lt_i32_e64 s[28:29], 15, v12
	s_and_saveexec_b64 s[34:35], s[28:29]
	s_cbranch_execz .LBB16_212
; %bb.209:                              ;   in Loop: Header=BB16_86 Depth=2
	s_trap 2
	ds_read_b64 v[2:3], v0
	v_add_u32_e32 v4, v4, v0
	v_ashrrev_i32_e32 v5, 31, v4
	s_mov_b64 s[36:37], 0
.LBB16_210:                             ;   Parent Loop BB16_81 Depth=1
                                        ;     Parent Loop BB16_86 Depth=2
                                        ; =>    This Inner Loop Header: Depth=3
	s_waitcnt lgkmcnt(0)
	v_add_co_u32_e64 v18, s[28:29], v2, v4
	v_addc_co_u32_e64 v19, s[28:29], v3, v5, s[28:29]
	global_load_dwordx4 v[14:17], v[18:19], off glc slc
	v_add_co_u32_e64 v4, s[28:29], v4, v32
	v_sub_u32_e32 v12, v12, v55
	v_addc_co_u32_e64 v5, s[28:29], v5, v33, s[28:29]
	v_cmp_gt_i32_e64 s[28:29], 16, v12
	v_sub_u32_e32 v10, v10, v42
	s_or_b64 s[36:37], s[28:29], s[36:37]
	s_waitcnt vmcnt(0)
	global_store_dwordx4 v[18:19], v[14:17], off glc slc
	s_andn2_b64 exec, exec, s[36:37]
	s_cbranch_execnz .LBB16_210
; %bb.211:                              ;   in Loop: Header=BB16_86 Depth=2
	s_or_b64 exec, exec, s[36:37]
	buffer_load_dword v16, off, s[0:3], s33 offset:152 ; 4-byte Folded Reload
	buffer_load_dword v17, off, s[0:3], s33 offset:156 ; 4-byte Folded Reload
.LBB16_212:                             ;   in Loop: Header=BB16_86 Depth=2
	s_or_b64 exec, exec, s[34:35]
	v_and_b32_e32 v2, 15, v59
	v_cndmask_b32_e32 v19, v11, v2, vcc
	v_cmp_ne_u32_e64 s[28:29], 0, v19
	s_mov_b64 s[34:35], 0
	v_mov_b32_e32 v18, 0
                                        ; implicit-def: $vgpr22
                                        ; implicit-def: $vgpr4
	s_and_saveexec_b64 s[36:37], s[28:29]
	s_cbranch_execz .LBB16_214
; %bb.213:                              ;   in Loop: Header=BB16_86 Depth=2
	v_sub_u32_e32 v2, v11, v2
	v_cndmask_b32_e32 v2, 0, v2, vcc
	v_cmp_lt_i32_e32 vcc, 0, v10
	v_add3_u32 v18, v7, v0, v2
	v_cndmask_b32_e32 v0, 0, v42, vcc
	v_sub_u32_e32 v0, v0, v10
	v_lshl_add_u32 v22, v0, 6, v1
	v_ashrrev_i32_e32 v0, 31, v22
	v_lshrrev_b32_e32 v0, 26, v0
	v_add_u32_e32 v0, v22, v0
	s_mov_b64 s[34:35], exec
	v_ashrrev_i32_e32 v4, 6, v0
.LBB16_214:                             ;   in Loop: Header=BB16_86 Depth=2
	s_or_b64 exec, exec, s[36:37]
	s_and_b64 s[34:35], s[34:35], exec
.LBB16_215:                             ;   in Loop: Header=BB16_86 Depth=2
	s_or_b64 exec, exec, s[30:31]
	s_and_saveexec_b64 s[28:29], s[34:35]
	s_cbranch_execz .LBB16_202
.LBB16_216:                             ;   in Loop: Header=BB16_86 Depth=2
	v_ashrrev_i32_e32 v0, 31, v19
	v_lshrrev_b32_e32 v0, 21, v0
	v_add_u32_e32 v0, v19, v0
	v_ashrrev_i32_e32 v1, 11, v0
	v_sub_u32_e32 v0, v1, v4
	v_cmp_lt_i32_e32 vcc, 0, v0
	s_and_saveexec_b64 s[30:31], vcc
	s_cbranch_execz .LBB16_220
; %bb.217:                              ;   in Loop: Header=BB16_86 Depth=2
	v_ashrrev_i32_e32 v5, 31, v22
	s_trap 2
	ds_read_b64 v[2:3], v0
	v_lshrrev_b32_e32 v5, 26, v5
	v_add_u32_e32 v5, v22, v5
	v_and_b32_e32 v5, 0xffffffc0, v5
	v_sub_u32_e32 v5, v22, v5
	v_lshlrev_b32_e32 v4, 11, v4
	v_accvgpr_write_b32 a30, v34
	v_add3_u32 v4, v18, v5, v4
	v_accvgpr_write_b32 a31, v35
	v_accvgpr_write_b32 a23, v21
	v_ashrrev_i32_e32 v5, 31, v4
	s_mov_b64 s[34:35], 0
	s_waitcnt lgkmcnt(0)
	v_pk_mov_b32 v[14:15], v[2:3], v[2:3] op_sel:[0,1]
	v_mov_b32_e32 v36, v42
.LBB16_218:                             ;   Parent Loop BB16_81 Depth=1
                                        ;     Parent Loop BB16_86 Depth=2
                                        ; =>    This Inner Loop Header: Depth=3
	v_add_co_u32_e32 v10, vcc, v4, v14
	v_addc_co_u32_e32 v11, vcc, v5, v15, vcc
	flat_load_ubyte v7, v[10:11] glc slc
	flat_load_ubyte v12, v[10:11] offset:64 glc slc
	flat_load_ubyte v13, v[10:11] offset:128 glc slc
	flat_load_ubyte v20, v[10:11] offset:192 glc slc
	flat_load_ubyte v21, v[10:11] offset:256 glc slc
	flat_load_ubyte v23, v[10:11] offset:320 glc slc
	flat_load_ubyte v24, v[10:11] offset:384 glc slc
	flat_load_ubyte v25, v[10:11] offset:448 glc slc
	flat_load_ubyte v30, v[10:11] offset:512 glc slc
	flat_load_ubyte v31, v[10:11] offset:576 glc slc
	flat_load_ubyte v32, v[10:11] offset:640 glc slc
	flat_load_ubyte v33, v[10:11] offset:704 glc slc
	flat_load_ubyte v34, v[10:11] offset:768 glc slc
	flat_load_ubyte v35, v[10:11] offset:832 glc slc
	flat_load_ubyte v48, v[10:11] offset:896 glc slc
	flat_load_ubyte v49, v[10:11] offset:960 glc slc
	flat_load_ubyte v51, v[10:11] offset:1024 glc slc
	flat_load_ubyte v53, v[10:11] offset:1088 glc slc
	flat_load_ubyte v54, v[10:11] offset:1152 glc slc
	flat_load_ubyte v55, v[10:11] offset:1216 glc slc
	flat_load_ubyte v40, v[10:11] offset:1280 glc slc
	flat_load_ubyte v41, v[10:11] offset:1344 glc slc
	flat_load_ubyte v42, v[10:11] offset:1408 glc slc
	flat_load_ubyte v43, v[10:11] offset:1472 glc slc
	flat_load_ubyte v44, v[10:11] offset:1536 glc slc
	flat_load_ubyte v45, v[10:11] offset:1600 glc slc
	flat_load_ubyte v46, v[10:11] offset:1664 glc slc
	flat_load_ubyte v47, v[10:11] offset:1728 glc slc
	flat_load_ubyte v56, v[10:11] offset:1792 glc slc
	flat_load_ubyte v57, v[10:11] offset:1856 glc slc
	flat_load_ubyte v60, v[10:11] offset:1920 glc slc
	s_nop 0
	flat_load_ubyte v10, v[10:11] offset:1984 glc slc
	s_waitcnt vmcnt(0)
	v_add_co_u32_e32 v16, vcc, v4, v2
	v_addc_co_u32_e32 v17, vcc, v5, v3, vcc
	v_add_co_u32_e32 v14, vcc, v14, v8
	v_addc_co_u32_e32 v15, vcc, v15, v9, vcc
	v_add_co_u32_e32 v2, vcc, v2, v8
	v_sub_u32_e32 v0, v0, v36
	v_addc_co_u32_e32 v3, vcc, v3, v9, vcc
	v_cmp_gt_i32_e32 vcc, 1, v0
	s_or_b64 s[34:35], vcc, s[34:35]
	s_waitcnt lgkmcnt(0)
	flat_store_byte v[16:17], v7 glc slc
	flat_store_byte v[16:17], v12 offset:64 glc slc
	flat_store_byte v[16:17], v13 offset:128 glc slc
	;; [unrolled: 1-line block ×31, first 2 shown]
	s_andn2_b64 exec, exec, s[34:35]
	s_cbranch_execnz .LBB16_218
; %bb.219:                              ;   in Loop: Header=BB16_86 Depth=2
	s_or_b64 exec, exec, s[34:35]
	buffer_load_dword v16, off, s[0:3], s33 offset:152 ; 4-byte Folded Reload
	buffer_load_dword v17, off, s[0:3], s33 offset:156 ; 4-byte Folded Reload
	v_accvgpr_read_b32 v41, a21
	v_accvgpr_read_b32 v45, a25
	;; [unrolled: 1-line block ×10, first 2 shown]
	v_mov_b32_e32 v42, v36
	v_accvgpr_read_b32 v34, a30
	v_accvgpr_read_b32 v51, a28
	v_mov_b32_e32 v53, 1
	v_accvgpr_read_b32 v55, a35
	v_accvgpr_read_b32 v24, a36
	;; [unrolled: 1-line block ×11, first 2 shown]
.LBB16_220:                             ;   in Loop: Header=BB16_86 Depth=2
	s_or_b64 exec, exec, s[30:31]
	v_lshlrev_b32_e32 v1, 11, v1
	v_cmp_ne_u32_e32 vcc, v19, v1
	s_and_saveexec_b64 s[30:31], vcc
	s_cbranch_execz .LBB16_224
; %bb.221:                              ;   in Loop: Header=BB16_86 Depth=2
	v_ashrrev_i32_e32 v2, 31, v22
	v_lshrrev_b32_e32 v2, 26, v2
	v_add_u32_e32 v2, v22, v2
	v_and_b32_e32 v2, 0xffffffc0, v2
	v_sub_u32_e32 v2, v22, v2
	v_lshlrev_b32_e32 v0, 6, v0
	v_sub_u32_e32 v0, v2, v0
	v_add_u32_e32 v1, v1, v0
	v_sub_u32_e32 v0, v19, v1
	v_cmp_lt_i32_e32 vcc, 0, v0
	s_and_b64 exec, exec, vcc
	s_cbranch_execz .LBB16_224
; %bb.222:                              ;   in Loop: Header=BB16_86 Depth=2
	s_trap 2
	ds_read_b64 v[2:3], v0
	v_add_u32_e32 v4, v1, v18
	v_ashrrev_i32_e32 v5, 31, v4
	s_mov_b64 s[34:35], 0
.LBB16_223:                             ;   Parent Loop BB16_81 Depth=1
                                        ;     Parent Loop BB16_86 Depth=2
                                        ; =>    This Inner Loop Header: Depth=3
	s_waitcnt lgkmcnt(0)
	v_add_co_u32_e32 v10, vcc, v2, v4
	v_addc_co_u32_e32 v11, vcc, v3, v5, vcc
	flat_load_ubyte v1, v[10:11] glc slc
	v_add_co_u32_e32 v4, vcc, v4, v57
	v_sub_u32_e32 v0, v0, v51
	v_addc_co_u32_e32 v5, vcc, v5, v60, vcc
	v_cmp_gt_i32_e32 vcc, 1, v0
	s_or_b64 s[34:35], vcc, s[34:35]
	s_waitcnt vmcnt(0) lgkmcnt(0)
	flat_store_byte v[10:11], v1 glc slc
	s_andn2_b64 exec, exec, s[34:35]
	s_cbranch_execnz .LBB16_223
.LBB16_224:                             ;   in Loop: Header=BB16_86 Depth=2
	s_or_b64 exec, exec, s[30:31]
	s_or_b64 exec, exec, s[28:29]
	s_and_saveexec_b64 s[28:29], s[10:11]
	s_cbranch_execz .LBB16_232
	s_branch .LBB16_158
.LBB16_225:                             ;   in Loop: Header=BB16_86 Depth=2
	s_or_b64 exec, exec, s[60:61]
	s_and_saveexec_b64 vcc, s[62:63]
	s_xor_b64 vcc, exec, vcc
	s_cbranch_execz .LBB16_227
; %bb.226:                              ;   in Loop: Header=BB16_86 Depth=2
	ds_write_b32 v0, v53
	s_trap 2
.LBB16_227:                             ;   in Loop: Header=BB16_86 Depth=2
	s_or_b64 exec, exec, s[36:37]
	;;#ASMSTART
	s_wakeup
	;;#ASMEND
.LBB16_228:                             ;   in Loop: Header=BB16_86 Depth=2
	s_or_b64 exec, exec, s[34:35]
.LBB16_229:                             ;   in Loop: Header=BB16_86 Depth=2
	s_andn2_saveexec_b64 vcc, s[30:31]
	s_cbranch_execz .LBB16_231
; %bb.230:                              ;   in Loop: Header=BB16_86 Depth=2
	s_waitcnt vmcnt(0) lgkmcnt(0)
	buffer_wbinvl1_vol
	s_barrier
.LBB16_231:                             ;   in Loop: Header=BB16_86 Depth=2
	s_or_b64 exec, exec, vcc
.LBB16_232:                             ;   in Loop: Header=BB16_86 Depth=2
	s_or_b64 exec, exec, s[28:29]
	v_and_b32_e32 v1, 16, v62
	s_and_saveexec_b64 s[28:29], s[24:25]
	s_xor_b64 s[30:31], exec, s[28:29]
	s_cbranch_execz .LBB16_237
; %bb.233:                              ;   in Loop: Header=BB16_86 Depth=2
	v_and_b32_e32 v0, 16, v62
	v_cmp_lt_i32_e32 vcc, 0, v59
	v_cmp_ne_u32_e64 s[28:29], 0, v0
	v_and_b32_e32 v1, 16, v62
	s_and_b64 vcc, s[28:29], vcc
	s_and_saveexec_b64 s[28:29], vcc
	s_cbranch_execz .LBB16_235
; %bb.234:                              ;   in Loop: Header=BB16_86 Depth=2
	v_mov_b32_e32 v1, 1
	s_waitcnt vmcnt(0) lgkmcnt(0)
	buffer_wbinvl1_vol
.LBB16_235:                             ;   in Loop: Header=BB16_86 Depth=2
	s_or_b64 exec, exec, s[28:29]
	s_andn2_saveexec_b64 s[28:29], s[30:31]
	s_cbranch_execnz .LBB16_238
.LBB16_236:                             ;   in Loop: Header=BB16_86 Depth=2
	s_or_b64 exec, exec, s[28:29]
	v_cmp_ne_u32_e32 vcc, 0, v1
	s_and_saveexec_b64 s[28:29], vcc
	s_cbranch_execz .LBB16_85
	s_branch .LBB16_256
.LBB16_237:                             ;   in Loop: Header=BB16_86 Depth=2
	s_andn2_saveexec_b64 s[28:29], s[30:31]
	s_cbranch_execz .LBB16_236
.LBB16_238:                             ;   in Loop: Header=BB16_86 Depth=2
	s_and_saveexec_b64 vcc, s[46:47]
	s_xor_b64 s[30:31], exec, vcc
	s_cbranch_execz .LBB16_253
; %bb.239:                              ;   in Loop: Header=BB16_86 Depth=2
	s_and_saveexec_b64 s[34:35], s[16:17]
	s_cbranch_execz .LBB16_252
; %bb.240:                              ;   in Loop: Header=BB16_86 Depth=2
	s_mov_b64 s[60:61], exec
	v_mbcnt_lo_u32_b32 v0, s60, 0
	v_mbcnt_hi_u32_b32 v0, s61, v0
	v_cmp_eq_u32_e32 vcc, 0, v0
	;;#ASMSTART
	s_waitcnt lgkmcnt(0) vmcnt(0)
	;;#ASMEND
	s_and_saveexec_b64 s[36:37], vcc
	s_cbranch_execz .LBB16_242
; %bb.241:                              ;   in Loop: Header=BB16_86 Depth=2
	s_bcnt1_i32_b64 vcc_lo, s[60:61]
	v_mov_b32_e32 v20, vcc_lo
	ds_add_u64 v0, v[20:21]
	s_trap 2
.LBB16_242:                             ;   in Loop: Header=BB16_86 Depth=2
	s_or_b64 exec, exec, s[36:37]
	s_trap 2
	ds_read_b64 v[2:3], v0
	v_add_co_u32_e32 v34, vcc, v34, v42
	v_addc_co_u32_e32 v35, vcc, 0, v35, vcc
	s_waitcnt lgkmcnt(0)
	v_cmp_lt_u64_e32 vcc, v[2:3], v[34:35]
	s_and_saveexec_b64 s[36:37], vcc
	s_cbranch_execz .LBB16_251
; %bb.243:                              ;   in Loop: Header=BB16_86 Depth=2
	s_mov_b32 s78, 0
	s_mov_b64 s[60:61], 0
                                        ; implicit-def: $sgpr62_sgpr63
                                        ; implicit-def: $sgpr64_sgpr65
	s_branch .LBB16_245
.LBB16_244:                             ;   in Loop: Header=BB16_245 Depth=3
	s_or_b64 exec, exec, s[68:69]
	s_and_b64 vcc, exec, vcc
	s_or_b64 s[60:61], vcc, s[60:61]
	s_andn2_b64 vcc, s[62:63], exec
	s_and_b64 s[62:63], s[64:65], exec
	s_or_b64 s[62:63], vcc, s[62:63]
	s_andn2_b64 exec, exec, s[60:61]
	s_cbranch_execz .LBB16_249
.LBB16_245:                             ;   Parent Loop BB16_81 Depth=1
                                        ;     Parent Loop BB16_86 Depth=2
                                        ; =>    This Inner Loop Header: Depth=3
	s_add_i32 s78, s78, 1
	s_cmpk_lg_i32 s78, 0x2710
	s_cselect_b64 s[66:67], -1, 0
	s_and_b64 vcc, exec, s[66:67]
                                        ; implicit-def: $sgpr68_sgpr69
	s_cbranch_vccnz .LBB16_247
; %bb.246:                              ;   in Loop: Header=BB16_245 Depth=3
	s_trap 2
	ds_read_b64 v[2:3], v0
	s_andn2_b64 s[66:67], s[66:67], exec
	s_mov_b32 s78, 0
	s_mov_b64 s[68:69], -1
	s_waitcnt vmcnt(0) lgkmcnt(0)
	flat_load_dword v0, v[2:3] glc
	s_waitcnt vmcnt(0) lgkmcnt(0)
	buffer_invl2
	buffer_wbinvl1_vol
	v_cmp_eq_u32_e32 vcc, 0, v0
	s_and_b64 vcc, vcc, exec
	s_or_b64 s[66:67], s[66:67], vcc
.LBB16_247:                             ;   in Loop: Header=BB16_245 Depth=3
	s_andn2_b64 s[64:65], s[64:65], exec
	s_and_b64 s[68:69], s[68:69], exec
	s_mov_b64 vcc, -1
	s_or_b64 s[64:65], s[64:65], s[68:69]
	s_and_saveexec_b64 s[68:69], s[66:67]
	s_cbranch_execz .LBB16_244
; %bb.248:                              ;   in Loop: Header=BB16_245 Depth=3
	s_sleep 1
	s_trap 2
	ds_read_b64 v[2:3], v0
	s_andn2_b64 s[64:65], s[64:65], exec
	s_waitcnt lgkmcnt(0)
	v_cmp_ge_u64_e32 vcc, v[2:3], v[34:35]
	s_orn2_b64 vcc, vcc, exec
	s_branch .LBB16_244
.LBB16_249:                             ;   in Loop: Header=BB16_86 Depth=2
	s_or_b64 exec, exec, s[60:61]
	s_and_saveexec_b64 vcc, s[62:63]
	s_xor_b64 vcc, exec, vcc
	s_cbranch_execz .LBB16_251
; %bb.250:                              ;   in Loop: Header=BB16_86 Depth=2
	ds_write_b32 v0, v53
	s_trap 2
.LBB16_251:                             ;   in Loop: Header=BB16_86 Depth=2
	s_or_b64 exec, exec, s[36:37]
	;;#ASMSTART
	s_wakeup
	;;#ASMEND
.LBB16_252:                             ;   in Loop: Header=BB16_86 Depth=2
	s_or_b64 exec, exec, s[34:35]
.LBB16_253:                             ;   in Loop: Header=BB16_86 Depth=2
	s_andn2_saveexec_b64 vcc, s[30:31]
	s_cbranch_execz .LBB16_255
; %bb.254:                              ;   in Loop: Header=BB16_86 Depth=2
	;;#ASMSTART
	s_waitcnt lgkmcnt(0) vmcnt(0)
	;;#ASMEND
	s_barrier
.LBB16_255:                             ;   in Loop: Header=BB16_86 Depth=2
	s_or_b64 exec, exec, vcc
	s_or_b64 exec, exec, s[28:29]
	v_cmp_ne_u32_e32 vcc, 0, v1
	s_and_saveexec_b64 s[28:29], vcc
	s_cbranch_execz .LBB16_85
.LBB16_256:                             ;   in Loop: Header=BB16_86 Depth=2
	s_and_saveexec_b64 vcc, s[14:15]
	s_cbranch_execz .LBB16_84
; %bb.257:                              ;   in Loop: Header=BB16_86 Depth=2
	flat_store_dword v[46:47], v53
	s_branch .LBB16_84
.LBB16_258:                             ;   in Loop: Header=BB16_81 Depth=1
	s_andn2_saveexec_b64 s[30:31], s[52:53]
	s_cbranch_execz .LBB16_546
.LBB16_259:                             ;   in Loop: Header=BB16_81 Depth=1
	v_mov_b32_e32 v0, 0
	v_accvgpr_read_b32 v2, a50
	v_mov_b32_e32 v6, 0
	s_and_saveexec_b64 s[34:35], s[26:27]
	s_cbranch_execz .LBB16_473
; %bb.260:                              ;   in Loop: Header=BB16_81 Depth=1
	s_mov_b32 s77, 1
	s_mov_b64 s[52:53], -1
	s_mov_b64 s[36:37], 0
	v_mov_b32_e32 v6, 0
	v_accvgpr_read_b32 v2, a50
	s_branch .LBB16_263
.LBB16_261:                             ;   in Loop: Header=BB16_263 Depth=2
	s_or_b64 exec, exec, vcc
	v_add_co_u32_e32 v26, vcc, 2, v26
	v_addc_co_u32_e32 v27, vcc, 0, v27, vcc
	flat_store_dwordx2 v[28:29], v[26:27]
.LBB16_262:                             ;   in Loop: Header=BB16_263 Depth=2
	s_or_b64 exec, exec, s[28:29]
	v_add_u32_e32 v6, v2, v6
	v_cmp_ge_i32_e32 vcc, v6, v13
	s_xor_b64 s[28:29], s[52:53], -1
	s_or_b64 s[28:29], s[28:29], vcc
	s_and_b64 s[28:29], exec, s[28:29]
	s_or_b64 s[36:37], s[28:29], s[36:37]
	s_mov_b64 s[52:53], 0
	v_mov_b32_e32 v0, s77
	s_mov_b32 s77, 2
	s_andn2_b64 exec, exec, s[36:37]
	s_cbranch_execz .LBB16_472
.LBB16_263:                             ;   Parent Loop BB16_81 Depth=1
                                        ; =>  This Loop Header: Depth=2
                                        ;       Child Loop BB16_271 Depth 3
                                        ;       Child Loop BB16_295 Depth 3
	;; [unrolled: 1-line block ×9, first 2 shown]
	s_and_saveexec_b64 s[28:29], s[4:5]
	s_cbranch_execz .LBB16_265
; %bb.264:                              ;   in Loop: Header=BB16_263 Depth=2
	s_trap 2
	ds_read_b64 v[0:1], v0
	v_accvgpr_read_b32 v4, a52
	v_accvgpr_read_b32 v5, a53
	v_ashrrev_i32_e32 v3, 31, v6
	v_mov_b32_e32 v20, v21
	s_waitcnt lgkmcnt(0)
	v_add_co_u32_e32 v0, vcc, v0, v4
	v_addc_co_u32_e32 v1, vcc, v1, v5, vcc
	v_add_co_u32_e32 v0, vcc, v0, v6
	v_addc_co_u32_e32 v1, vcc, v1, v3, vcc
	ds_write_b64 v0, v[0:1]
	ds_write_b64 v0, v[20:21]
.LBB16_265:                             ;   in Loop: Header=BB16_263 Depth=2
	s_or_b64 exec, exec, s[28:29]
	v_and_b32_e32 v0, 8, v62
	v_cmp_ne_u32_e32 vcc, 0, v0
	s_mov_b64 s[54:55], -1
	s_and_saveexec_b64 s[28:29], vcc
	s_cbranch_execz .LBB16_277
; %bb.266:                              ;   in Loop: Header=BB16_263 Depth=2
	v_add_co_u32_e32 v0, vcc, 8, v38
	v_addc_co_u32_e32 v1, vcc, 0, v39, vcc
	v_add_co_u32_e32 v4, vcc, 2, v26
	v_addc_co_u32_e32 v5, vcc, 0, v27, vcc
	v_cmp_lt_u64_e32 vcc, v[0:1], v[4:5]
	v_mov_b32_e32 v0, 1
	s_and_saveexec_b64 s[54:55], vcc
	s_cbranch_execz .LBB16_276
; %bb.267:                              ;   in Loop: Header=BB16_263 Depth=2
	s_mov_b64 s[56:57], 0
	v_mov_b32_e32 v0, 0
                                        ; implicit-def: $sgpr58_sgpr59
	s_branch .LBB16_271
.LBB16_268:                             ;   in Loop: Header=BB16_271 Depth=3
	s_or_b64 exec, exec, s[66:67]
	v_mov_b32_e32 v1, 0
	s_orn2_b64 s[64:65], s[64:65], exec
.LBB16_269:                             ;   in Loop: Header=BB16_271 Depth=3
	s_or_b64 exec, exec, s[62:63]
	s_andn2_b64 vcc, s[58:59], exec
	s_and_b64 s[58:59], s[64:65], exec
	s_or_b64 s[58:59], vcc, s[58:59]
	v_mov_b32_e32 v0, v1
.LBB16_270:                             ;   in Loop: Header=BB16_271 Depth=3
	s_or_b64 exec, exec, s[60:61]
	s_waitcnt vmcnt(0) lgkmcnt(0)
	v_add_co_u32_e32 v10, vcc, 8, v38
	v_addc_co_u32_e32 v11, vcc, 0, v39, vcc
	v_cmp_ge_u64_e32 vcc, v[10:11], v[4:5]
	s_xor_b64 s[60:61], s[58:59], -1
	s_or_b64 vcc, s[60:61], vcc
	s_and_b64 vcc, exec, vcc
	s_or_b64 s[56:57], vcc, s[56:57]
	s_andn2_b64 exec, exec, s[56:57]
	s_cbranch_execz .LBB16_275
.LBB16_271:                             ;   Parent Loop BB16_81 Depth=1
                                        ;     Parent Loop BB16_263 Depth=2
                                        ; =>    This Inner Loop Header: Depth=3
	s_sleep 1
	flat_load_dwordx2 v[38:39], v[28:29] glc
	v_and_b32_e32 v1, 64, v62
	v_cmp_eq_u32_e32 vcc, 0, v1
	s_andn2_b64 s[58:59], s[58:59], exec
	s_and_saveexec_b64 s[60:61], vcc
	s_cbranch_execz .LBB16_270
; %bb.272:                              ;   in Loop: Header=BB16_271 Depth=3
	v_add_u32_e32 v1, 1, v0
	v_cmp_lt_i32_e32 vcc, s73, v0
	s_mov_b64 s[64:65], -1
	s_and_saveexec_b64 s[62:63], vcc
	s_cbranch_execz .LBB16_269
; %bb.273:                              ;   in Loop: Header=BB16_271 Depth=3
	s_trap 2
	ds_read_b64 v[0:1], v0
	s_waitcnt vmcnt(0) lgkmcnt(0)
	flat_load_dword v0, v[0:1] glc
	s_waitcnt vmcnt(0) lgkmcnt(0)
	buffer_invl2
	buffer_wbinvl1_vol
	v_cmp_ne_u32_e32 vcc, 0, v0
	s_and_saveexec_b64 s[66:67], vcc
	s_cbranch_execz .LBB16_268
; %bb.274:                              ;   in Loop: Header=BB16_271 Depth=3
	v_or_b32_e32 v62, 64, v62
	s_xor_b64 s[64:65], exec, -1
	ds_write_b32 v0, v0
	s_trap 2
	s_branch .LBB16_268
.LBB16_275:                             ;   in Loop: Header=BB16_263 Depth=2
	s_or_b64 exec, exec, s[56:57]
	v_and_b32_e32 v0, 8, v62
.LBB16_276:                             ;   in Loop: Header=BB16_263 Depth=2
	s_or_b64 exec, exec, s[54:55]
	v_cmp_eq_u32_e32 vcc, 0, v0
	s_orn2_b64 s[54:55], vcc, exec
	;;#ASMSTART
	s_wakeup
	;;#ASMEND
.LBB16_277:                             ;   in Loop: Header=BB16_263 Depth=2
	s_or_b64 exec, exec, s[28:29]
	v_sub_u32_e32 v0, v13, v6
	s_xor_b64 s[28:29], s[54:55], -1
	v_min_i32_e32 v2, v2, v0
	s_and_saveexec_b64 s[54:55], s[28:29]
	s_cbranch_execz .LBB16_287
; %bb.278:                              ;   in Loop: Header=BB16_263 Depth=2
	v_and_b32_e32 v0, 0x100, v62
	v_cmp_ne_u32_e32 vcc, 0, v0
	v_and_b32_e32 v0, 7, v26
	s_mov_b64 s[28:29], -1
                                        ; implicit-def: $vgpr4_vgpr5
	s_and_saveexec_b64 s[56:57], vcc
	s_cbranch_execz .LBB16_282
; %bb.279:                              ;   in Loop: Header=BB16_263 Depth=2
	v_mad_u64_u32 v[14:15], s[28:29], v0, 24, v[40:41]
	flat_load_dword v1, v[14:15]
	v_ashrrev_i32_e32 v3, 31, v2
	flat_store_dwordx2 v[14:15], v[2:3] offset:8
                                        ; implicit-def: $vgpr4_vgpr5
	s_waitcnt vmcnt(0) lgkmcnt(0)
	v_cmp_ne_u32_e32 vcc, 1, v1
	v_cmp_eq_u32_e64 s[28:29], 1, v1
	s_and_saveexec_b64 s[58:59], s[28:29]
	s_cbranch_execz .LBB16_281
; %bb.280:                              ;   in Loop: Header=BB16_263 Depth=2
	flat_load_dword v4, v[14:15] offset:4 glc
	s_waitcnt vmcnt(0) lgkmcnt(0)
	v_ashrrev_i32_e32 v5, 31, v4
.LBB16_281:                             ;   in Loop: Header=BB16_263 Depth=2
	s_or_b64 exec, exec, s[58:59]
	s_orn2_b64 s[28:29], vcc, exec
.LBB16_282:                             ;   in Loop: Header=BB16_263 Depth=2
	s_or_b64 exec, exec, s[56:57]
	s_and_saveexec_b64 vcc, s[28:29]
; %bb.283:                              ;   in Loop: Header=BB16_263 Depth=2
	v_mad_i64_i32 v[4:5], s[28:29], v0, v54, 0
; %bb.284:                              ;   in Loop: Header=BB16_263 Depth=2
	s_or_b64 exec, exec, vcc
	v_add_co_u32_e32 v0, vcc, v44, v4
	v_addc_co_u32_e32 v1, vcc, v45, v5, vcc
	ds_write_b64 v0, v[0:1] offset:784
	v_and_b32_e32 v0, 0x2000, v62
	v_cmp_ne_u32_e32 vcc, 0, v0
	s_and_saveexec_b64 s[28:29], vcc
	s_cbranch_execz .LBB16_286
; %bb.285:                              ;   in Loop: Header=BB16_263 Depth=2
	ds_read_b64 v[0:1], v0 offset:584
	s_waitcnt lgkmcnt(0)
	v_add_co_u32_e32 v0, vcc, 1, v0
	v_addc_co_u32_e32 v1, vcc, 0, v1, vcc
	ds_write_b64 v0, v[0:1] offset:584
.LBB16_286:                             ;   in Loop: Header=BB16_263 Depth=2
	s_or_b64 exec, exec, s[28:29]
	v_add_co_u32_e32 v26, vcc, 2, v26
	v_addc_co_u32_e32 v27, vcc, 0, v27, vcc
.LBB16_287:                             ;   in Loop: Header=BB16_263 Depth=2
	s_or_b64 exec, exec, s[54:55]
	s_and_saveexec_b64 s[28:29], s[10:11]
	s_cbranch_execz .LBB16_306
; %bb.288:                              ;   in Loop: Header=BB16_263 Depth=2
	s_and_saveexec_b64 vcc, s[46:47]
	s_xor_b64 s[54:55], exec, vcc
	s_cbranch_execz .LBB16_303
; %bb.289:                              ;   in Loop: Header=BB16_263 Depth=2
	s_and_saveexec_b64 s[56:57], s[16:17]
	s_cbranch_execz .LBB16_302
; %bb.290:                              ;   in Loop: Header=BB16_263 Depth=2
	s_mov_b64 s[60:61], exec
	v_mbcnt_lo_u32_b32 v0, s60, 0
	v_mbcnt_hi_u32_b32 v0, s61, v0
	v_cmp_eq_u32_e32 vcc, 0, v0
	s_waitcnt vmcnt(0) lgkmcnt(0)
	buffer_wbinvl1_vol
	s_and_saveexec_b64 s[58:59], vcc
	s_cbranch_execz .LBB16_292
; %bb.291:                              ;   in Loop: Header=BB16_263 Depth=2
	s_bcnt1_i32_b64 vcc_lo, s[60:61]
	v_mov_b32_e32 v20, vcc_lo
	ds_add_u64 v0, v[20:21]
	s_trap 2
.LBB16_292:                             ;   in Loop: Header=BB16_263 Depth=2
	s_or_b64 exec, exec, s[58:59]
	s_trap 2
	ds_read_b64 v[0:1], v0
	v_add_co_u32_e32 v34, vcc, v34, v42
	v_addc_co_u32_e32 v35, vcc, 0, v35, vcc
	s_waitcnt lgkmcnt(0)
	v_cmp_lt_u64_e32 vcc, v[0:1], v[34:35]
	s_and_saveexec_b64 s[58:59], vcc
	s_cbranch_execz .LBB16_301
; %bb.293:                              ;   in Loop: Header=BB16_263 Depth=2
	s_mov_b32 s78, 0
	s_mov_b64 s[60:61], 0
                                        ; implicit-def: $sgpr62_sgpr63
                                        ; implicit-def: $sgpr64_sgpr65
	s_branch .LBB16_295
.LBB16_294:                             ;   in Loop: Header=BB16_295 Depth=3
	s_or_b64 exec, exec, s[68:69]
	s_and_b64 vcc, exec, vcc
	s_or_b64 s[60:61], vcc, s[60:61]
	s_andn2_b64 vcc, s[62:63], exec
	s_and_b64 s[62:63], s[64:65], exec
	s_or_b64 s[62:63], vcc, s[62:63]
	s_andn2_b64 exec, exec, s[60:61]
	s_cbranch_execz .LBB16_299
.LBB16_295:                             ;   Parent Loop BB16_81 Depth=1
                                        ;     Parent Loop BB16_263 Depth=2
                                        ; =>    This Inner Loop Header: Depth=3
	s_add_i32 s78, s78, 1
	s_cmpk_lg_i32 s78, 0x2710
	s_cselect_b64 s[66:67], -1, 0
	s_and_b64 vcc, exec, s[66:67]
                                        ; implicit-def: $sgpr68_sgpr69
	s_cbranch_vccnz .LBB16_297
; %bb.296:                              ;   in Loop: Header=BB16_295 Depth=3
	s_trap 2
	ds_read_b64 v[0:1], v0
	s_andn2_b64 s[66:67], s[66:67], exec
	s_mov_b32 s78, 0
	s_mov_b64 s[68:69], -1
	s_waitcnt lgkmcnt(0)
	flat_load_dword v0, v[0:1] glc
	s_waitcnt vmcnt(0) lgkmcnt(0)
	buffer_invl2
	buffer_wbinvl1_vol
	v_cmp_eq_u32_e32 vcc, 0, v0
	s_and_b64 vcc, vcc, exec
	s_or_b64 s[66:67], s[66:67], vcc
.LBB16_297:                             ;   in Loop: Header=BB16_295 Depth=3
	s_andn2_b64 s[64:65], s[64:65], exec
	s_and_b64 s[68:69], s[68:69], exec
	s_mov_b64 vcc, -1
	s_or_b64 s[64:65], s[64:65], s[68:69]
	s_and_saveexec_b64 s[68:69], s[66:67]
	s_cbranch_execz .LBB16_294
; %bb.298:                              ;   in Loop: Header=BB16_295 Depth=3
	s_sleep 1
	s_trap 2
	ds_read_b64 v[0:1], v0
	s_andn2_b64 s[64:65], s[64:65], exec
	s_waitcnt lgkmcnt(0)
	v_cmp_ge_u64_e32 vcc, v[0:1], v[34:35]
	s_orn2_b64 vcc, vcc, exec
	s_branch .LBB16_294
.LBB16_299:                             ;   in Loop: Header=BB16_263 Depth=2
	s_or_b64 exec, exec, s[60:61]
	s_and_saveexec_b64 vcc, s[62:63]
	s_xor_b64 vcc, exec, vcc
	s_cbranch_execz .LBB16_301
; %bb.300:                              ;   in Loop: Header=BB16_263 Depth=2
	ds_write_b32 v0, v53
	s_trap 2
.LBB16_301:                             ;   in Loop: Header=BB16_263 Depth=2
	s_or_b64 exec, exec, s[58:59]
	;;#ASMSTART
	s_wakeup
	;;#ASMEND
.LBB16_302:                             ;   in Loop: Header=BB16_263 Depth=2
	s_or_b64 exec, exec, s[56:57]
.LBB16_303:                             ;   in Loop: Header=BB16_263 Depth=2
	s_andn2_saveexec_b64 vcc, s[54:55]
	s_cbranch_execz .LBB16_305
; %bb.304:                              ;   in Loop: Header=BB16_263 Depth=2
	s_waitcnt vmcnt(0) lgkmcnt(0)
	buffer_wbinvl1_vol
	s_barrier
.LBB16_305:                             ;   in Loop: Header=BB16_263 Depth=2
	s_or_b64 exec, exec, vcc
.LBB16_306:                             ;   in Loop: Header=BB16_263 Depth=2
	s_or_b64 exec, exec, s[28:29]
	s_trap 2
	ds_read_b32 v3, v0
	v_and_b32_e32 v0, 0x4000, v62
	v_cmp_ne_u32_e32 vcc, 0, v0
	s_xor_b64 s[28:29], s[6:7], -1
	s_and_b64 vcc, s[28:29], vcc
	s_and_saveexec_b64 s[28:29], vcc
	s_cbranch_execz .LBB16_325
; %bb.307:                              ;   in Loop: Header=BB16_263 Depth=2
	s_and_saveexec_b64 vcc, s[46:47]
	s_xor_b64 s[54:55], exec, vcc
	s_cbranch_execz .LBB16_322
; %bb.308:                              ;   in Loop: Header=BB16_263 Depth=2
	s_and_saveexec_b64 s[56:57], s[16:17]
	s_cbranch_execz .LBB16_321
; %bb.309:                              ;   in Loop: Header=BB16_263 Depth=2
	s_mov_b64 s[60:61], exec
	v_mbcnt_lo_u32_b32 v0, s60, 0
	v_mbcnt_hi_u32_b32 v0, s61, v0
	v_cmp_eq_u32_e32 vcc, 0, v0
	s_waitcnt vmcnt(0) lgkmcnt(0)
	buffer_wbinvl1_vol
	s_and_saveexec_b64 s[58:59], vcc
	s_cbranch_execz .LBB16_311
; %bb.310:                              ;   in Loop: Header=BB16_263 Depth=2
	s_bcnt1_i32_b64 vcc_lo, s[60:61]
	v_mov_b32_e32 v20, vcc_lo
	ds_add_u64 v0, v[20:21]
	s_trap 2
.LBB16_311:                             ;   in Loop: Header=BB16_263 Depth=2
	s_or_b64 exec, exec, s[58:59]
	s_trap 2
	ds_read_b64 v[0:1], v0
	v_add_co_u32_e32 v34, vcc, v34, v42
	v_addc_co_u32_e32 v35, vcc, 0, v35, vcc
	s_waitcnt lgkmcnt(0)
	v_cmp_lt_u64_e32 vcc, v[0:1], v[34:35]
	s_and_saveexec_b64 s[58:59], vcc
	s_cbranch_execz .LBB16_320
; %bb.312:                              ;   in Loop: Header=BB16_263 Depth=2
	s_mov_b32 s78, 0
	s_mov_b64 s[60:61], 0
                                        ; implicit-def: $sgpr62_sgpr63
                                        ; implicit-def: $sgpr64_sgpr65
	s_branch .LBB16_314
.LBB16_313:                             ;   in Loop: Header=BB16_314 Depth=3
	s_or_b64 exec, exec, s[68:69]
	s_and_b64 vcc, exec, vcc
	s_or_b64 s[60:61], vcc, s[60:61]
	s_andn2_b64 vcc, s[62:63], exec
	s_and_b64 s[62:63], s[64:65], exec
	s_or_b64 s[62:63], vcc, s[62:63]
	s_andn2_b64 exec, exec, s[60:61]
	s_cbranch_execz .LBB16_318
.LBB16_314:                             ;   Parent Loop BB16_81 Depth=1
                                        ;     Parent Loop BB16_263 Depth=2
                                        ; =>    This Inner Loop Header: Depth=3
	s_add_i32 s78, s78, 1
	s_cmpk_lg_i32 s78, 0x2710
	s_cselect_b64 s[66:67], -1, 0
	s_and_b64 vcc, exec, s[66:67]
                                        ; implicit-def: $sgpr68_sgpr69
	s_cbranch_vccnz .LBB16_316
; %bb.315:                              ;   in Loop: Header=BB16_314 Depth=3
	s_trap 2
	ds_read_b64 v[0:1], v0
	s_andn2_b64 s[66:67], s[66:67], exec
	s_mov_b32 s78, 0
	s_mov_b64 s[68:69], -1
	s_waitcnt lgkmcnt(0)
	flat_load_dword v0, v[0:1] glc
	s_waitcnt vmcnt(0) lgkmcnt(0)
	buffer_invl2
	buffer_wbinvl1_vol
	v_cmp_eq_u32_e32 vcc, 0, v0
	s_and_b64 vcc, vcc, exec
	s_or_b64 s[66:67], s[66:67], vcc
.LBB16_316:                             ;   in Loop: Header=BB16_314 Depth=3
	s_andn2_b64 s[64:65], s[64:65], exec
	s_and_b64 s[68:69], s[68:69], exec
	s_mov_b64 vcc, -1
	s_or_b64 s[64:65], s[64:65], s[68:69]
	s_and_saveexec_b64 s[68:69], s[66:67]
	s_cbranch_execz .LBB16_313
; %bb.317:                              ;   in Loop: Header=BB16_314 Depth=3
	s_sleep 1
	s_trap 2
	ds_read_b64 v[0:1], v0
	s_andn2_b64 s[64:65], s[64:65], exec
	s_waitcnt lgkmcnt(0)
	v_cmp_ge_u64_e32 vcc, v[0:1], v[34:35]
	s_orn2_b64 vcc, vcc, exec
	s_branch .LBB16_313
.LBB16_318:                             ;   in Loop: Header=BB16_263 Depth=2
	s_or_b64 exec, exec, s[60:61]
	s_and_saveexec_b64 vcc, s[62:63]
	s_xor_b64 vcc, exec, vcc
	s_cbranch_execz .LBB16_320
; %bb.319:                              ;   in Loop: Header=BB16_263 Depth=2
	ds_write_b32 v0, v53
	s_trap 2
.LBB16_320:                             ;   in Loop: Header=BB16_263 Depth=2
	s_or_b64 exec, exec, s[58:59]
	;;#ASMSTART
	s_wakeup
	;;#ASMEND
.LBB16_321:                             ;   in Loop: Header=BB16_263 Depth=2
	s_or_b64 exec, exec, s[56:57]
.LBB16_322:                             ;   in Loop: Header=BB16_263 Depth=2
	s_andn2_saveexec_b64 vcc, s[54:55]
	s_cbranch_execz .LBB16_324
; %bb.323:                              ;   in Loop: Header=BB16_263 Depth=2
	s_waitcnt vmcnt(0) lgkmcnt(0)
	buffer_wbinvl1_vol
	s_barrier
.LBB16_324:                             ;   in Loop: Header=BB16_263 Depth=2
	s_or_b64 exec, exec, vcc
.LBB16_325:                             ;   in Loop: Header=BB16_263 Depth=2
	s_or_b64 exec, exec, s[28:29]
	s_trap 2
	ds_read_b64 v[0:1], v0
	v_mov_b32_e32 v58, 0
	s_waitcnt lgkmcnt(0)
	v_readfirstlane_b32 s28, v0
	v_readfirstlane_b32 s29, v1
	s_cmp_eq_u64 s[28:29], 0
	s_cselect_b64 s[28:29], -1, 0
	s_or_b64 s[28:29], s[28:29], s[28:29]
	s_and_b64 vcc, exec, s[28:29]
	s_cbranch_vccnz .LBB16_355
; %bb.326:                              ;   in Loop: Header=BB16_263 Depth=2
	s_mov_b64 s[28:29], -1
	s_and_saveexec_b64 s[54:55], s[18:19]
	s_cbranch_execz .LBB16_328
; %bb.327:                              ;   in Loop: Header=BB16_263 Depth=2
	ds_read_b32 v0, v0 offset:720
	s_waitcnt lgkmcnt(0)
	v_and_b32_e32 v0, 15, v0
	v_cmp_eq_u32_e32 vcc, 0, v0
	s_orn2_b64 s[28:29], vcc, exec
.LBB16_328:                             ;   in Loop: Header=BB16_263 Depth=2
	s_or_b64 exec, exec, s[54:55]
	s_and_saveexec_b64 s[54:55], s[22:23]
	s_cbranch_execz .LBB16_330
; %bb.329:                              ;   in Loop: Header=BB16_263 Depth=2
	ds_read_b32 v0, v0 offset:784
	s_waitcnt lgkmcnt(0)
	v_and_b32_e32 v0, 15, v0
	v_cmp_eq_u32_e32 vcc, 0, v0
	s_and_b64 vcc, s[28:29], vcc
	s_andn2_b64 s[28:29], s[28:29], exec
	s_and_b64 vcc, vcc, exec
	s_or_b64 s[28:29], s[28:29], vcc
.LBB16_330:                             ;   in Loop: Header=BB16_263 Depth=2
	s_or_b64 exec, exec, s[54:55]
	v_cmp_eq_u32_e32 vcc, 0, v3
	s_xor_b64 s[28:29], s[28:29], -1
	v_cndmask_b32_e32 v58, 0, v2, vcc
	v_cndmask_b32_e64 v0, 0, 1, s[28:29]
	v_mov_b32_e32 v15, 0
	s_mov_b64 s[56:57], -1
	;;#ASMSTART
	;;#ASMEND
	v_cmp_ne_u32_e32 vcc, 0, v0
	v_mov_b32_e32 v18, v58
	v_mov_b32_e32 v19, v61
	;; [unrolled: 1-line block ×3, first 2 shown]
	s_cbranch_vccz .LBB16_332
; %bb.331:                              ;   in Loop: Header=BB16_263 Depth=2
	s_and_saveexec_b64 s[28:29], s[56:57]
	s_cbranch_execnz .LBB16_345
	s_branch .LBB16_354
.LBB16_332:                             ;   in Loop: Header=BB16_263 Depth=2
	v_ashrrev_i32_e32 v0, 31, v58
	v_lshrrev_b32_e32 v0, 20, v0
	v_add_u32_e32 v0, v58, v0
	v_ashrrev_i32_e32 v0, 12, v0
	v_sub_u32_e32 v1, v0, v43
	v_cmp_lt_i32_e32 vcc, 0, v1
	s_and_saveexec_b64 s[28:29], vcc
	s_cbranch_execz .LBB16_336
; %bb.333:                              ;   in Loop: Header=BB16_263 Depth=2
	s_trap 2
	ds_read_b64 v[4:5], v0
	v_pk_mov_b32 v[36:37], v[34:35], v[34:35] op_sel:[0,1]
	s_mov_b64 s[54:55], 0
	v_accvgpr_read_b32 v3, a49
	s_waitcnt lgkmcnt(0)
	v_pk_mov_b32 v[14:15], v[4:5], v[4:5] op_sel:[0,1]
.LBB16_334:                             ;   Parent Loop BB16_81 Depth=1
                                        ;     Parent Loop BB16_263 Depth=2
                                        ; =>    This Inner Loop Header: Depth=3
	s_waitcnt vmcnt(0)
	v_add_co_u32_e32 v30, vcc, v16, v14
	v_addc_co_u32_e32 v31, vcc, v3, v15, vcc
	global_load_dwordx4 v[10:13], v[30:31], off glc slc
	global_load_dwordx4 v[16:19], v[30:31], off offset:1024 glc slc
	global_load_dwordx4 v[22:25], v[30:31], off offset:2048 glc slc
	s_nop 0
	global_load_dwordx4 v[30:33], v[30:31], off offset:3072 glc slc
	s_nop 0
	buffer_load_dword v34, off, s[0:3], s33 offset:152 ; 4-byte Folded Reload
	buffer_load_dword v35, off, s[0:3], s33 offset:156 ; 4-byte Folded Reload
	v_sub_u32_e32 v1, v1, v42
	s_waitcnt vmcnt(1)
	v_add_co_u32_e32 v34, vcc, v34, v4
	s_waitcnt vmcnt(0)
	v_addc_co_u32_e32 v35, vcc, v3, v5, vcc
	global_store_dwordx4 v[34:35], v[10:13], off glc slc
	global_store_dwordx4 v[34:35], v[16:19], off offset:1024 glc slc
	buffer_load_dword v16, off, s[0:3], s33 offset:152 ; 4-byte Folded Reload
	s_nop 0
	buffer_load_dword v17, off, s[0:3], s33 offset:156 ; 4-byte Folded Reload
	v_add_co_u32_e32 v14, vcc, v14, v52
	v_addc_co_u32_e32 v15, vcc, v15, v50, vcc
	v_add_co_u32_e32 v4, vcc, v4, v52
	v_addc_co_u32_e32 v5, vcc, v5, v50, vcc
	v_cmp_gt_i32_e32 vcc, 1, v1
	s_or_b64 s[54:55], vcc, s[54:55]
	global_store_dwordx4 v[34:35], v[22:25], off offset:2048 glc slc
	global_store_dwordx4 v[34:35], v[30:33], off offset:3072 glc slc
	s_andn2_b64 exec, exec, s[54:55]
	s_cbranch_execnz .LBB16_334
; %bb.335:                              ;   in Loop: Header=BB16_263 Depth=2
	s_or_b64 exec, exec, s[54:55]
	v_pk_mov_b32 v[34:35], v[36:37], v[36:37] op_sel:[0,1]
	v_accvgpr_read_b32 v24, a36
	v_accvgpr_read_b32 v30, a38
	;; [unrolled: 1-line block ×7, first 2 shown]
.LBB16_336:                             ;   in Loop: Header=BB16_263 Depth=2
	s_or_b64 exec, exec, s[28:29]
	v_lshlrev_b32_e32 v0, 12, v0
	v_cmp_ne_u32_e32 vcc, v58, v0
	s_mov_b64 s[56:57], 0
	v_mov_b32_e32 v15, 0
                                        ; implicit-def: $vgpr18
                                        ; implicit-def: $vgpr19
                                        ; implicit-def: $vgpr3
	s_and_saveexec_b64 s[54:55], vcc
	s_cbranch_execz .LBB16_344
; %bb.337:                              ;   in Loop: Header=BB16_263 Depth=2
	v_lshlrev_b32_e32 v1, 6, v1
	v_accvgpr_read_b32 v3, a43
	v_sub_u32_e32 v1, v3, v1
	v_sub_u32_e32 v4, v58, v0
	v_ashrrev_i32_e32 v3, 31, v1
	v_lshrrev_b32_e32 v3, 26, v3
	v_ashrrev_i32_e32 v7, 31, v4
	v_add_u32_e32 v3, v1, v3
	v_lshrrev_b32_e32 v7, 22, v7
	v_ashrrev_i32_e32 v5, 6, v3
	v_and_b32_e32 v3, 0xffffffc0, v3
	v_add_u32_e32 v7, v4, v7
	v_sub_u32_e32 v1, v1, v3
	v_ashrrev_i32_e32 v10, 10, v7
	v_and_b32_e32 v7, 0xfffffc00, v7
	v_lshlrev_b32_e32 v3, 4, v1
	v_sub_u32_e32 v11, v4, v7
	v_lshl_add_u32 v3, v5, 10, v3
	v_cmp_lt_i32_e32 vcc, 15, v11
	v_sub_u32_e32 v12, v4, v3
	v_addc_co_u32_e64 v4, s[28:29], 0, v10, vcc
	v_sub_u32_e32 v10, v4, v5
	v_cmp_lt_i32_e64 s[28:29], 15, v12
	s_and_saveexec_b64 s[56:57], s[28:29]
	s_cbranch_execz .LBB16_341
; %bb.338:                              ;   in Loop: Header=BB16_263 Depth=2
	s_trap 2
	ds_read_b64 v[4:5], v0
	v_add_u32_e32 v14, v3, v0
	v_ashrrev_i32_e32 v3, 31, v14
	s_mov_b64 s[58:59], 0
.LBB16_339:                             ;   Parent Loop BB16_81 Depth=1
                                        ;     Parent Loop BB16_263 Depth=2
                                        ; =>    This Inner Loop Header: Depth=3
	s_waitcnt lgkmcnt(0)
	v_add_co_u32_e64 v22, s[28:29], v4, v14
	v_addc_co_u32_e64 v23, s[28:29], v5, v3, s[28:29]
	global_load_dwordx4 v[16:19], v[22:23], off glc slc
	v_add_co_u32_e64 v14, s[28:29], v14, v32
	v_sub_u32_e32 v12, v12, v55
	v_addc_co_u32_e64 v3, s[28:29], v3, v33, s[28:29]
	v_cmp_gt_i32_e64 s[28:29], 16, v12
	v_sub_u32_e32 v10, v10, v42
	s_or_b64 s[58:59], s[28:29], s[58:59]
	s_waitcnt vmcnt(0)
	global_store_dwordx4 v[22:23], v[16:19], off glc slc
	s_andn2_b64 exec, exec, s[58:59]
	s_cbranch_execnz .LBB16_339
; %bb.340:                              ;   in Loop: Header=BB16_263 Depth=2
	s_or_b64 exec, exec, s[58:59]
	buffer_load_dword v16, off, s[0:3], s33 offset:152 ; 4-byte Folded Reload
	buffer_load_dword v17, off, s[0:3], s33 offset:156 ; 4-byte Folded Reload
.LBB16_341:                             ;   in Loop: Header=BB16_263 Depth=2
	s_or_b64 exec, exec, s[56:57]
	v_and_b32_e32 v4, 15, v58
	v_cndmask_b32_e32 v18, v11, v4, vcc
	v_cmp_ne_u32_e64 s[28:29], 0, v18
	s_mov_b64 s[56:57], 0
	v_mov_b32_e32 v15, 0
                                        ; implicit-def: $vgpr19
                                        ; implicit-def: $vgpr3
	s_and_saveexec_b64 s[58:59], s[28:29]
	s_cbranch_execz .LBB16_343
; %bb.342:                              ;   in Loop: Header=BB16_263 Depth=2
	v_sub_u32_e32 v3, v11, v4
	v_cndmask_b32_e32 v3, 0, v3, vcc
	v_cmp_lt_i32_e32 vcc, 0, v10
	v_add3_u32 v15, v7, v0, v3
	v_cndmask_b32_e32 v0, 0, v42, vcc
	v_sub_u32_e32 v0, v0, v10
	v_lshl_add_u32 v19, v0, 6, v1
	v_ashrrev_i32_e32 v0, 31, v19
	v_lshrrev_b32_e32 v0, 26, v0
	v_add_u32_e32 v0, v19, v0
	s_mov_b64 s[56:57], exec
	v_ashrrev_i32_e32 v3, 6, v0
.LBB16_343:                             ;   in Loop: Header=BB16_263 Depth=2
	s_or_b64 exec, exec, s[58:59]
	s_and_b64 s[56:57], s[56:57], exec
.LBB16_344:                             ;   in Loop: Header=BB16_263 Depth=2
	s_or_b64 exec, exec, s[54:55]
	s_and_saveexec_b64 s[28:29], s[56:57]
	s_cbranch_execz .LBB16_354
.LBB16_345:                             ;   in Loop: Header=BB16_263 Depth=2
	v_ashrrev_i32_e32 v0, 31, v18
	v_lshrrev_b32_e32 v0, 21, v0
	v_add_u32_e32 v0, v18, v0
	v_ashrrev_i32_e32 v1, 11, v0
	v_sub_u32_e32 v0, v1, v3
	v_cmp_lt_i32_e32 vcc, 0, v0
	s_and_saveexec_b64 s[54:55], vcc
	s_cbranch_execz .LBB16_349
; %bb.346:                              ;   in Loop: Header=BB16_263 Depth=2
	v_ashrrev_i32_e32 v7, 31, v19
	s_trap 2
	ds_read_b64 v[4:5], v0
	v_lshrrev_b32_e32 v7, 26, v7
	v_add_u32_e32 v7, v19, v7
	v_and_b32_e32 v7, 0xffffffc0, v7
	v_sub_u32_e32 v7, v19, v7
	v_lshlrev_b32_e32 v3, 11, v3
	v_accvgpr_write_b32 a30, v34
	v_add3_u32 v14, v15, v7, v3
	v_accvgpr_write_b32 a31, v35
	v_accvgpr_write_b32 a23, v21
	v_ashrrev_i32_e32 v3, 31, v14
	s_mov_b64 s[56:57], 0
	s_waitcnt vmcnt(0) lgkmcnt(0)
	v_pk_mov_b32 v[16:17], v[4:5], v[4:5] op_sel:[0,1]
	v_mov_b32_e32 v36, v42
.LBB16_347:                             ;   Parent Loop BB16_81 Depth=1
                                        ;     Parent Loop BB16_263 Depth=2
                                        ; =>    This Inner Loop Header: Depth=3
	v_add_co_u32_e32 v10, vcc, v14, v16
	v_addc_co_u32_e32 v11, vcc, v3, v17, vcc
	flat_load_ubyte v7, v[10:11] glc slc
	flat_load_ubyte v12, v[10:11] offset:64 glc slc
	flat_load_ubyte v13, v[10:11] offset:128 glc slc
	;; [unrolled: 1-line block ×30, first 2 shown]
	s_nop 0
	flat_load_ubyte v10, v[10:11] offset:1984 glc slc
	v_add_co_u32_e32 v22, vcc, v14, v4
	v_addc_co_u32_e32 v23, vcc, v3, v5, vcc
	v_add_co_u32_e32 v16, vcc, v16, v8
	v_addc_co_u32_e32 v17, vcc, v17, v9, vcc
	v_add_co_u32_e32 v4, vcc, v4, v8
	v_sub_u32_e32 v0, v0, v36
	v_addc_co_u32_e32 v5, vcc, v5, v9, vcc
	v_cmp_gt_i32_e32 vcc, 1, v0
	s_or_b64 s[56:57], vcc, s[56:57]
	s_waitcnt vmcnt(0) lgkmcnt(0)
	flat_store_byte v[22:23], v7 glc slc
	flat_store_byte v[22:23], v12 offset:64 glc slc
	flat_store_byte v[22:23], v13 offset:128 glc slc
	;; [unrolled: 1-line block ×31, first 2 shown]
	s_andn2_b64 exec, exec, s[56:57]
	s_cbranch_execnz .LBB16_347
; %bb.348:                              ;   in Loop: Header=BB16_263 Depth=2
	s_or_b64 exec, exec, s[56:57]
	buffer_load_dword v16, off, s[0:3], s33 offset:152 ; 4-byte Folded Reload
	buffer_load_dword v17, off, s[0:3], s33 offset:156 ; 4-byte Folded Reload
	v_accvgpr_read_b32 v41, a21
	v_accvgpr_read_b32 v45, a25
	;; [unrolled: 1-line block ×10, first 2 shown]
	v_mov_b32_e32 v42, v36
	v_accvgpr_read_b32 v34, a30
	v_accvgpr_read_b32 v51, a28
	v_mov_b32_e32 v53, 1
	v_accvgpr_read_b32 v55, a35
	v_accvgpr_read_b32 v24, a36
	;; [unrolled: 1-line block ×11, first 2 shown]
.LBB16_349:                             ;   in Loop: Header=BB16_263 Depth=2
	s_or_b64 exec, exec, s[54:55]
	v_lshlrev_b32_e32 v1, 11, v1
	v_cmp_ne_u32_e32 vcc, v18, v1
	s_and_saveexec_b64 s[54:55], vcc
	s_cbranch_execz .LBB16_353
; %bb.350:                              ;   in Loop: Header=BB16_263 Depth=2
	v_ashrrev_i32_e32 v3, 31, v19
	v_lshrrev_b32_e32 v3, 26, v3
	v_add_u32_e32 v3, v19, v3
	v_and_b32_e32 v3, 0xffffffc0, v3
	v_sub_u32_e32 v3, v19, v3
	v_lshlrev_b32_e32 v0, 6, v0
	v_sub_u32_e32 v0, v3, v0
	v_add_u32_e32 v1, v1, v0
	v_sub_u32_e32 v0, v18, v1
	v_cmp_lt_i32_e32 vcc, 0, v0
	s_and_b64 exec, exec, vcc
	s_cbranch_execz .LBB16_353
; %bb.351:                              ;   in Loop: Header=BB16_263 Depth=2
	s_trap 2
	ds_read_b64 v[4:5], v0
	v_add_u32_e32 v14, v1, v15
	v_ashrrev_i32_e32 v3, 31, v14
	s_mov_b64 s[56:57], 0
.LBB16_352:                             ;   Parent Loop BB16_81 Depth=1
                                        ;     Parent Loop BB16_263 Depth=2
                                        ; =>    This Inner Loop Header: Depth=3
	s_waitcnt lgkmcnt(0)
	v_add_co_u32_e32 v10, vcc, v4, v14
	v_addc_co_u32_e32 v11, vcc, v5, v3, vcc
	flat_load_ubyte v1, v[10:11] glc slc
	v_add_co_u32_e32 v14, vcc, v14, v57
	v_sub_u32_e32 v0, v0, v51
	v_addc_co_u32_e32 v3, vcc, v3, v60, vcc
	v_cmp_gt_i32_e32 vcc, 1, v0
	s_or_b64 s[56:57], vcc, s[56:57]
	s_waitcnt vmcnt(0) lgkmcnt(0)
	flat_store_byte v[10:11], v1 glc slc
	s_andn2_b64 exec, exec, s[56:57]
	s_cbranch_execnz .LBB16_352
.LBB16_353:                             ;   in Loop: Header=BB16_263 Depth=2
	s_or_b64 exec, exec, s[54:55]
.LBB16_354:                             ;   in Loop: Header=BB16_263 Depth=2
	s_or_b64 exec, exec, s[28:29]
.LBB16_355:                             ;   in Loop: Header=BB16_263 Depth=2
	s_and_saveexec_b64 s[28:29], s[10:11]
	s_cbranch_execz .LBB16_374
; %bb.356:                              ;   in Loop: Header=BB16_263 Depth=2
	s_and_saveexec_b64 vcc, s[46:47]
	s_xor_b64 s[54:55], exec, vcc
	s_cbranch_execz .LBB16_371
; %bb.357:                              ;   in Loop: Header=BB16_263 Depth=2
	s_and_saveexec_b64 s[56:57], s[16:17]
	s_cbranch_execz .LBB16_370
; %bb.358:                              ;   in Loop: Header=BB16_263 Depth=2
	s_mov_b64 s[60:61], exec
	v_mbcnt_lo_u32_b32 v0, s60, 0
	v_mbcnt_hi_u32_b32 v0, s61, v0
	v_cmp_eq_u32_e32 vcc, 0, v0
	s_waitcnt vmcnt(0) lgkmcnt(0)
	buffer_wbinvl1_vol
	s_and_saveexec_b64 s[58:59], vcc
	s_cbranch_execz .LBB16_360
; %bb.359:                              ;   in Loop: Header=BB16_263 Depth=2
	s_bcnt1_i32_b64 vcc_lo, s[60:61]
	v_mov_b32_e32 v20, vcc_lo
	ds_add_u64 v0, v[20:21]
	s_trap 2
.LBB16_360:                             ;   in Loop: Header=BB16_263 Depth=2
	s_or_b64 exec, exec, s[58:59]
	s_trap 2
	ds_read_b64 v[0:1], v0
	v_add_co_u32_e32 v34, vcc, v34, v42
	v_addc_co_u32_e32 v35, vcc, 0, v35, vcc
	s_waitcnt lgkmcnt(0)
	v_cmp_lt_u64_e32 vcc, v[0:1], v[34:35]
	s_and_saveexec_b64 s[58:59], vcc
	s_cbranch_execz .LBB16_369
; %bb.361:                              ;   in Loop: Header=BB16_263 Depth=2
	s_mov_b32 s78, 0
	s_mov_b64 s[60:61], 0
                                        ; implicit-def: $sgpr62_sgpr63
                                        ; implicit-def: $sgpr64_sgpr65
	s_branch .LBB16_363
.LBB16_362:                             ;   in Loop: Header=BB16_363 Depth=3
	s_or_b64 exec, exec, s[68:69]
	s_and_b64 vcc, exec, vcc
	s_or_b64 s[60:61], vcc, s[60:61]
	s_andn2_b64 vcc, s[62:63], exec
	s_and_b64 s[62:63], s[64:65], exec
	s_or_b64 s[62:63], vcc, s[62:63]
	s_andn2_b64 exec, exec, s[60:61]
	s_cbranch_execz .LBB16_367
.LBB16_363:                             ;   Parent Loop BB16_81 Depth=1
                                        ;     Parent Loop BB16_263 Depth=2
                                        ; =>    This Inner Loop Header: Depth=3
	s_add_i32 s78, s78, 1
	s_cmpk_lg_i32 s78, 0x2710
	s_cselect_b64 s[66:67], -1, 0
	s_and_b64 vcc, exec, s[66:67]
                                        ; implicit-def: $sgpr68_sgpr69
	s_cbranch_vccnz .LBB16_365
; %bb.364:                              ;   in Loop: Header=BB16_363 Depth=3
	s_trap 2
	ds_read_b64 v[0:1], v0
	s_andn2_b64 s[66:67], s[66:67], exec
	s_mov_b32 s78, 0
	s_mov_b64 s[68:69], -1
	s_waitcnt lgkmcnt(0)
	flat_load_dword v0, v[0:1] glc
	s_waitcnt vmcnt(0) lgkmcnt(0)
	buffer_invl2
	buffer_wbinvl1_vol
	v_cmp_eq_u32_e32 vcc, 0, v0
	s_and_b64 vcc, vcc, exec
	s_or_b64 s[66:67], s[66:67], vcc
.LBB16_365:                             ;   in Loop: Header=BB16_363 Depth=3
	s_andn2_b64 s[64:65], s[64:65], exec
	s_and_b64 s[68:69], s[68:69], exec
	s_mov_b64 vcc, -1
	s_or_b64 s[64:65], s[64:65], s[68:69]
	s_and_saveexec_b64 s[68:69], s[66:67]
	s_cbranch_execz .LBB16_362
; %bb.366:                              ;   in Loop: Header=BB16_363 Depth=3
	s_sleep 1
	s_trap 2
	ds_read_b64 v[0:1], v0
	s_andn2_b64 s[64:65], s[64:65], exec
	s_waitcnt lgkmcnt(0)
	v_cmp_ge_u64_e32 vcc, v[0:1], v[34:35]
	s_orn2_b64 vcc, vcc, exec
	s_branch .LBB16_362
.LBB16_367:                             ;   in Loop: Header=BB16_263 Depth=2
	s_or_b64 exec, exec, s[60:61]
	s_and_saveexec_b64 vcc, s[62:63]
	s_xor_b64 vcc, exec, vcc
	s_cbranch_execz .LBB16_369
; %bb.368:                              ;   in Loop: Header=BB16_263 Depth=2
	ds_write_b32 v0, v53
	s_trap 2
.LBB16_369:                             ;   in Loop: Header=BB16_263 Depth=2
	s_or_b64 exec, exec, s[58:59]
	;;#ASMSTART
	s_wakeup
	;;#ASMEND
.LBB16_370:                             ;   in Loop: Header=BB16_263 Depth=2
	s_or_b64 exec, exec, s[56:57]
.LBB16_371:                             ;   in Loop: Header=BB16_263 Depth=2
	s_andn2_saveexec_b64 vcc, s[54:55]
	s_cbranch_execz .LBB16_373
; %bb.372:                              ;   in Loop: Header=BB16_263 Depth=2
	s_waitcnt vmcnt(0) lgkmcnt(0)
	buffer_wbinvl1_vol
	s_barrier
.LBB16_373:                             ;   in Loop: Header=BB16_263 Depth=2
	s_or_b64 exec, exec, vcc
.LBB16_374:                             ;   in Loop: Header=BB16_263 Depth=2
	s_or_b64 exec, exec, s[28:29]
	v_and_b32_e32 v1, 16, v62
	s_and_saveexec_b64 s[28:29], s[24:25]
	s_xor_b64 s[54:55], exec, s[28:29]
	s_cbranch_execz .LBB16_379
; %bb.375:                              ;   in Loop: Header=BB16_263 Depth=2
	v_and_b32_e32 v0, 16, v62
	v_cmp_lt_i32_e32 vcc, 0, v58
	v_cmp_ne_u32_e64 s[28:29], 0, v0
	v_and_b32_e32 v1, 16, v62
	s_and_b64 vcc, s[28:29], vcc
	s_and_saveexec_b64 s[28:29], vcc
	s_cbranch_execz .LBB16_377
; %bb.376:                              ;   in Loop: Header=BB16_263 Depth=2
	v_mov_b32_e32 v1, 1
	s_waitcnt vmcnt(0) lgkmcnt(0)
	buffer_wbinvl1_vol
.LBB16_377:                             ;   in Loop: Header=BB16_263 Depth=2
	s_or_b64 exec, exec, s[28:29]
	s_andn2_saveexec_b64 s[28:29], s[54:55]
	s_cbranch_execnz .LBB16_380
.LBB16_378:                             ;   in Loop: Header=BB16_263 Depth=2
	s_or_b64 exec, exec, s[28:29]
	v_cmp_ne_u32_e32 vcc, 0, v1
	s_and_saveexec_b64 s[28:29], vcc
	s_cbranch_execz .LBB16_262
	s_branch .LBB16_398
.LBB16_379:                             ;   in Loop: Header=BB16_263 Depth=2
	s_andn2_saveexec_b64 s[28:29], s[54:55]
	s_cbranch_execz .LBB16_378
.LBB16_380:                             ;   in Loop: Header=BB16_263 Depth=2
	s_and_saveexec_b64 vcc, s[46:47]
	s_xor_b64 s[54:55], exec, vcc
	s_cbranch_execz .LBB16_395
; %bb.381:                              ;   in Loop: Header=BB16_263 Depth=2
	s_and_saveexec_b64 s[56:57], s[16:17]
	s_cbranch_execz .LBB16_394
; %bb.382:                              ;   in Loop: Header=BB16_263 Depth=2
	s_mov_b64 s[60:61], exec
	v_mbcnt_lo_u32_b32 v0, s60, 0
	v_mbcnt_hi_u32_b32 v0, s61, v0
	v_cmp_eq_u32_e32 vcc, 0, v0
	;;#ASMSTART
	s_waitcnt lgkmcnt(0) vmcnt(0)
	;;#ASMEND
	s_and_saveexec_b64 s[58:59], vcc
	s_cbranch_execz .LBB16_384
; %bb.383:                              ;   in Loop: Header=BB16_263 Depth=2
	s_bcnt1_i32_b64 vcc_lo, s[60:61]
	v_mov_b32_e32 v20, vcc_lo
	ds_add_u64 v0, v[20:21]
	s_trap 2
.LBB16_384:                             ;   in Loop: Header=BB16_263 Depth=2
	s_or_b64 exec, exec, s[58:59]
	s_trap 2
	ds_read_b64 v[4:5], v0
	v_add_co_u32_e32 v34, vcc, v34, v42
	v_addc_co_u32_e32 v35, vcc, 0, v35, vcc
	s_waitcnt lgkmcnt(0)
	v_cmp_lt_u64_e32 vcc, v[4:5], v[34:35]
	s_and_saveexec_b64 s[58:59], vcc
	s_cbranch_execz .LBB16_393
; %bb.385:                              ;   in Loop: Header=BB16_263 Depth=2
	s_mov_b32 s78, 0
	s_mov_b64 s[60:61], 0
                                        ; implicit-def: $sgpr62_sgpr63
                                        ; implicit-def: $sgpr64_sgpr65
	s_branch .LBB16_387
.LBB16_386:                             ;   in Loop: Header=BB16_387 Depth=3
	s_or_b64 exec, exec, s[68:69]
	s_and_b64 vcc, exec, vcc
	s_or_b64 s[60:61], vcc, s[60:61]
	s_andn2_b64 vcc, s[62:63], exec
	s_and_b64 s[62:63], s[64:65], exec
	s_or_b64 s[62:63], vcc, s[62:63]
	s_andn2_b64 exec, exec, s[60:61]
	s_cbranch_execz .LBB16_391
.LBB16_387:                             ;   Parent Loop BB16_81 Depth=1
                                        ;     Parent Loop BB16_263 Depth=2
                                        ; =>    This Inner Loop Header: Depth=3
	s_add_i32 s78, s78, 1
	s_cmpk_lg_i32 s78, 0x2710
	s_cselect_b64 s[66:67], -1, 0
	s_and_b64 vcc, exec, s[66:67]
                                        ; implicit-def: $sgpr68_sgpr69
	s_cbranch_vccnz .LBB16_389
; %bb.388:                              ;   in Loop: Header=BB16_387 Depth=3
	s_trap 2
	ds_read_b64 v[4:5], v0
	s_andn2_b64 s[66:67], s[66:67], exec
	s_mov_b32 s78, 0
	s_mov_b64 s[68:69], -1
	s_waitcnt vmcnt(0) lgkmcnt(0)
	flat_load_dword v0, v[4:5] glc
	s_waitcnt vmcnt(0) lgkmcnt(0)
	buffer_invl2
	buffer_wbinvl1_vol
	v_cmp_eq_u32_e32 vcc, 0, v0
	s_and_b64 vcc, vcc, exec
	s_or_b64 s[66:67], s[66:67], vcc
.LBB16_389:                             ;   in Loop: Header=BB16_387 Depth=3
	s_andn2_b64 s[64:65], s[64:65], exec
	s_and_b64 s[68:69], s[68:69], exec
	s_mov_b64 vcc, -1
	s_or_b64 s[64:65], s[64:65], s[68:69]
	s_and_saveexec_b64 s[68:69], s[66:67]
	s_cbranch_execz .LBB16_386
; %bb.390:                              ;   in Loop: Header=BB16_387 Depth=3
	s_sleep 1
	s_trap 2
	ds_read_b64 v[4:5], v0
	s_andn2_b64 s[64:65], s[64:65], exec
	s_waitcnt lgkmcnt(0)
	v_cmp_ge_u64_e32 vcc, v[4:5], v[34:35]
	s_orn2_b64 vcc, vcc, exec
	s_branch .LBB16_386
.LBB16_391:                             ;   in Loop: Header=BB16_263 Depth=2
	s_or_b64 exec, exec, s[60:61]
	s_and_saveexec_b64 vcc, s[62:63]
	s_xor_b64 vcc, exec, vcc
	s_cbranch_execz .LBB16_393
; %bb.392:                              ;   in Loop: Header=BB16_263 Depth=2
	ds_write_b32 v0, v53
	s_trap 2
.LBB16_393:                             ;   in Loop: Header=BB16_263 Depth=2
	s_or_b64 exec, exec, s[58:59]
	;;#ASMSTART
	s_wakeup
	;;#ASMEND
.LBB16_394:                             ;   in Loop: Header=BB16_263 Depth=2
	s_or_b64 exec, exec, s[56:57]
.LBB16_395:                             ;   in Loop: Header=BB16_263 Depth=2
	s_andn2_saveexec_b64 vcc, s[54:55]
	s_cbranch_execz .LBB16_397
; %bb.396:                              ;   in Loop: Header=BB16_263 Depth=2
	;;#ASMSTART
	s_waitcnt lgkmcnt(0) vmcnt(0)
	;;#ASMEND
	s_barrier
.LBB16_397:                             ;   in Loop: Header=BB16_263 Depth=2
	s_or_b64 exec, exec, vcc
	s_or_b64 exec, exec, s[28:29]
	v_cmp_ne_u32_e32 vcc, 0, v1
	s_and_saveexec_b64 s[28:29], vcc
	s_cbranch_execz .LBB16_262
.LBB16_398:                             ;   in Loop: Header=BB16_263 Depth=2
	s_and_saveexec_b64 vcc, s[14:15]
	s_cbranch_execz .LBB16_261
; %bb.399:                              ;   in Loop: Header=BB16_263 Depth=2
	flat_store_dword v[46:47], v53
	s_branch .LBB16_261
.LBB16_400:                             ;   in Loop: Header=BB16_81 Depth=1
	s_or_b64 exec, exec, s[56:57]
.LBB16_401:                             ;   in Loop: Header=BB16_81 Depth=1
	s_or_b64 exec, exec, s[54:55]
	v_cmp_gt_i32_e32 vcc, 2, v0
	s_and_saveexec_b64 s[30:31], vcc
	s_cbranch_execz .LBB16_545
; %bb.402:                              ;   in Loop: Header=BB16_81 Depth=1
	v_cmp_eq_u32_e64 s[28:29], 0, v0
	s_mov_b64 s[34:35], 0
	s_branch .LBB16_405
.LBB16_403:                             ;   in Loop: Header=BB16_405 Depth=2
	s_or_b64 exec, exec, vcc
	v_add_co_u32_e32 v26, vcc, 2, v26
	v_addc_co_u32_e32 v27, vcc, 0, v27, vcc
	flat_store_dwordx2 v[28:29], v[26:27]
.LBB16_404:                             ;   in Loop: Header=BB16_405 Depth=2
	s_or_b64 exec, exec, s[28:29]
	v_add_u32_e32 v6, v58, v6
	s_mov_b64 s[28:29], 0
	s_andn2_b64 exec, exec, s[34:35]
	s_cbranch_execz .LBB16_544
.LBB16_405:                             ;   Parent Loop BB16_81 Depth=1
                                        ; =>  This Loop Header: Depth=2
                                        ;       Child Loop BB16_411 Depth 3
                                        ;       Child Loop BB16_435 Depth 3
	;; [unrolled: 1-line block ×3, first 2 shown]
	v_and_b32_e32 v0, 8, v62
	s_mov_b64 s[54:55], -1
	v_cmp_ne_u32_e32 vcc, 0, v0
	s_and_saveexec_b64 s[36:37], vcc
	s_cbranch_execz .LBB16_417
; %bb.406:                              ;   in Loop: Header=BB16_405 Depth=2
	v_add_co_u32_e32 v0, vcc, 8, v38
	v_addc_co_u32_e32 v1, vcc, 0, v39, vcc
	v_add_co_u32_e32 v2, vcc, 2, v26
	v_addc_co_u32_e32 v3, vcc, 0, v27, vcc
	v_cmp_lt_u64_e32 vcc, v[0:1], v[2:3]
	v_mov_b32_e32 v0, 1
	s_and_saveexec_b64 s[54:55], vcc
	s_cbranch_execz .LBB16_416
; %bb.407:                              ;   in Loop: Header=BB16_405 Depth=2
	s_mov_b64 s[56:57], 0
	v_mov_b32_e32 v0, 0
                                        ; implicit-def: $sgpr58_sgpr59
	s_branch .LBB16_411
.LBB16_408:                             ;   in Loop: Header=BB16_411 Depth=3
	s_or_b64 exec, exec, s[66:67]
	v_mov_b32_e32 v1, 0
	s_orn2_b64 s[64:65], s[64:65], exec
.LBB16_409:                             ;   in Loop: Header=BB16_411 Depth=3
	s_or_b64 exec, exec, s[62:63]
	s_andn2_b64 vcc, s[58:59], exec
	s_and_b64 s[58:59], s[64:65], exec
	s_or_b64 s[58:59], vcc, s[58:59]
	v_mov_b32_e32 v0, v1
.LBB16_410:                             ;   in Loop: Header=BB16_411 Depth=3
	s_or_b64 exec, exec, s[60:61]
	s_waitcnt vmcnt(0) lgkmcnt(0)
	v_add_co_u32_e32 v4, vcc, 8, v38
	v_addc_co_u32_e32 v5, vcc, 0, v39, vcc
	v_cmp_ge_u64_e32 vcc, v[4:5], v[2:3]
	s_xor_b64 s[60:61], s[58:59], -1
	s_or_b64 vcc, s[60:61], vcc
	s_and_b64 vcc, exec, vcc
	s_or_b64 s[56:57], vcc, s[56:57]
	s_andn2_b64 exec, exec, s[56:57]
	s_cbranch_execz .LBB16_415
.LBB16_411:                             ;   Parent Loop BB16_81 Depth=1
                                        ;     Parent Loop BB16_405 Depth=2
                                        ; =>    This Inner Loop Header: Depth=3
	s_sleep 1
	flat_load_dwordx2 v[38:39], v[28:29] glc
	v_and_b32_e32 v1, 64, v62
	v_cmp_eq_u32_e32 vcc, 0, v1
	s_andn2_b64 s[58:59], s[58:59], exec
	s_and_saveexec_b64 s[60:61], vcc
	s_cbranch_execz .LBB16_410
; %bb.412:                              ;   in Loop: Header=BB16_411 Depth=3
	v_add_u32_e32 v1, 1, v0
	v_cmp_lt_i32_e32 vcc, s73, v0
	s_mov_b64 s[64:65], -1
	s_and_saveexec_b64 s[62:63], vcc
	s_cbranch_execz .LBB16_409
; %bb.413:                              ;   in Loop: Header=BB16_411 Depth=3
	s_trap 2
	ds_read_b64 v[0:1], v0
	s_waitcnt vmcnt(0) lgkmcnt(0)
	flat_load_dword v0, v[0:1] glc
	s_waitcnt vmcnt(0) lgkmcnt(0)
	buffer_invl2
	buffer_wbinvl1_vol
	v_cmp_ne_u32_e32 vcc, 0, v0
	s_and_saveexec_b64 s[66:67], vcc
	s_cbranch_execz .LBB16_408
; %bb.414:                              ;   in Loop: Header=BB16_411 Depth=3
	v_or_b32_e32 v62, 64, v62
	s_xor_b64 s[64:65], exec, -1
	ds_write_b32 v0, v0
	s_trap 2
	s_branch .LBB16_408
.LBB16_415:                             ;   in Loop: Header=BB16_405 Depth=2
	s_or_b64 exec, exec, s[56:57]
	v_and_b32_e32 v0, 8, v62
.LBB16_416:                             ;   in Loop: Header=BB16_405 Depth=2
	s_or_b64 exec, exec, s[54:55]
	v_cmp_eq_u32_e32 vcc, 0, v0
	s_orn2_b64 s[54:55], vcc, exec
	;;#ASMSTART
	s_wakeup
	;;#ASMEND
.LBB16_417:                             ;   in Loop: Header=BB16_405 Depth=2
	s_or_b64 exec, exec, s[36:37]
	s_xor_b64 s[28:29], s[28:29], -1
	s_and_b64 s[28:29], exec, s[28:29]
	s_or_b64 s[34:35], s[28:29], s[34:35]
	v_sub_u32_e32 v0, v13, v6
	s_xor_b64 s[28:29], s[54:55], -1
	v_min_i32_e32 v58, v58, v0
	s_and_saveexec_b64 s[36:37], s[28:29]
	s_cbranch_execz .LBB16_427
; %bb.418:                              ;   in Loop: Header=BB16_405 Depth=2
	v_and_b32_e32 v0, 0x100, v62
	v_cmp_ne_u32_e32 vcc, 0, v0
	v_and_b32_e32 v0, 7, v26
	s_mov_b64 s[28:29], -1
                                        ; implicit-def: $vgpr2_vgpr3
	s_and_saveexec_b64 s[54:55], vcc
	s_cbranch_execz .LBB16_422
; %bb.419:                              ;   in Loop: Header=BB16_405 Depth=2
	v_mad_u64_u32 v[4:5], s[28:29], v0, 24, v[40:41]
	flat_load_dword v1, v[4:5]
	v_ashrrev_i32_e32 v59, 31, v58
	flat_store_dwordx2 v[4:5], v[58:59] offset:8
                                        ; implicit-def: $vgpr2_vgpr3
	s_waitcnt vmcnt(0) lgkmcnt(0)
	v_cmp_ne_u32_e32 vcc, 1, v1
	v_cmp_eq_u32_e64 s[28:29], 1, v1
	s_and_saveexec_b64 s[56:57], s[28:29]
	s_cbranch_execz .LBB16_421
; %bb.420:                              ;   in Loop: Header=BB16_405 Depth=2
	flat_load_dword v2, v[4:5] offset:4 glc
	s_waitcnt vmcnt(0) lgkmcnt(0)
	v_ashrrev_i32_e32 v3, 31, v2
.LBB16_421:                             ;   in Loop: Header=BB16_405 Depth=2
	s_or_b64 exec, exec, s[56:57]
	s_orn2_b64 s[28:29], vcc, exec
.LBB16_422:                             ;   in Loop: Header=BB16_405 Depth=2
	s_or_b64 exec, exec, s[54:55]
	s_and_saveexec_b64 vcc, s[28:29]
; %bb.423:                              ;   in Loop: Header=BB16_405 Depth=2
	v_mad_i64_i32 v[2:3], s[28:29], v0, v54, 0
; %bb.424:                              ;   in Loop: Header=BB16_405 Depth=2
	s_or_b64 exec, exec, vcc
	v_add_co_u32_e32 v0, vcc, v44, v2
	v_addc_co_u32_e32 v1, vcc, v45, v3, vcc
	ds_write_b64 v0, v[0:1] offset:792
	v_and_b32_e32 v0, 0x2000, v62
	v_cmp_ne_u32_e32 vcc, 0, v0
	s_and_saveexec_b64 s[28:29], vcc
	s_cbranch_execz .LBB16_426
; %bb.425:                              ;   in Loop: Header=BB16_405 Depth=2
	ds_read_b64 v[0:1], v0 offset:584
	s_waitcnt lgkmcnt(0)
	v_add_co_u32_e32 v0, vcc, 1, v0
	v_addc_co_u32_e32 v1, vcc, 0, v1, vcc
	ds_write_b64 v0, v[0:1] offset:584
.LBB16_426:                             ;   in Loop: Header=BB16_405 Depth=2
	s_or_b64 exec, exec, s[28:29]
	v_add_co_u32_e32 v26, vcc, 2, v26
	v_addc_co_u32_e32 v27, vcc, 0, v27, vcc
.LBB16_427:                             ;   in Loop: Header=BB16_405 Depth=2
	s_or_b64 exec, exec, s[36:37]
	s_and_saveexec_b64 s[28:29], s[10:11]
	s_cbranch_execz .LBB16_446
; %bb.428:                              ;   in Loop: Header=BB16_405 Depth=2
	s_and_saveexec_b64 vcc, s[46:47]
	s_xor_b64 s[36:37], exec, vcc
	s_cbranch_execz .LBB16_443
; %bb.429:                              ;   in Loop: Header=BB16_405 Depth=2
	s_and_saveexec_b64 s[54:55], s[16:17]
	s_cbranch_execz .LBB16_442
; %bb.430:                              ;   in Loop: Header=BB16_405 Depth=2
	s_mov_b64 s[58:59], exec
	v_mbcnt_lo_u32_b32 v0, s58, 0
	v_mbcnt_hi_u32_b32 v0, s59, v0
	v_cmp_eq_u32_e32 vcc, 0, v0
	s_waitcnt vmcnt(0) lgkmcnt(0)
	buffer_wbinvl1_vol
	s_and_saveexec_b64 s[56:57], vcc
	s_cbranch_execz .LBB16_432
; %bb.431:                              ;   in Loop: Header=BB16_405 Depth=2
	s_bcnt1_i32_b64 vcc_lo, s[58:59]
	v_mov_b32_e32 v20, vcc_lo
	ds_add_u64 v0, v[20:21]
	s_trap 2
.LBB16_432:                             ;   in Loop: Header=BB16_405 Depth=2
	s_or_b64 exec, exec, s[56:57]
	s_trap 2
	ds_read_b64 v[0:1], v0
	v_add_co_u32_e32 v34, vcc, v34, v42
	v_addc_co_u32_e32 v35, vcc, 0, v35, vcc
	s_waitcnt lgkmcnt(0)
	v_cmp_lt_u64_e32 vcc, v[0:1], v[34:35]
	s_and_saveexec_b64 s[56:57], vcc
	s_cbranch_execz .LBB16_441
; %bb.433:                              ;   in Loop: Header=BB16_405 Depth=2
	s_mov_b32 s68, 0
	s_mov_b64 s[58:59], 0
                                        ; implicit-def: $sgpr60_sgpr61
                                        ; implicit-def: $sgpr62_sgpr63
	s_branch .LBB16_435
.LBB16_434:                             ;   in Loop: Header=BB16_435 Depth=3
	s_or_b64 exec, exec, s[66:67]
	s_and_b64 vcc, exec, vcc
	s_or_b64 s[58:59], vcc, s[58:59]
	s_andn2_b64 vcc, s[60:61], exec
	s_and_b64 s[60:61], s[62:63], exec
	s_or_b64 s[60:61], vcc, s[60:61]
	s_andn2_b64 exec, exec, s[58:59]
	s_cbranch_execz .LBB16_439
.LBB16_435:                             ;   Parent Loop BB16_81 Depth=1
                                        ;     Parent Loop BB16_405 Depth=2
                                        ; =>    This Inner Loop Header: Depth=3
	s_add_i32 s68, s68, 1
	s_cmpk_lg_i32 s68, 0x2710
	s_cselect_b64 s[64:65], -1, 0
	s_and_b64 vcc, exec, s[64:65]
                                        ; implicit-def: $sgpr66_sgpr67
	s_cbranch_vccnz .LBB16_437
; %bb.436:                              ;   in Loop: Header=BB16_435 Depth=3
	s_trap 2
	ds_read_b64 v[0:1], v0
	s_andn2_b64 s[64:65], s[64:65], exec
	s_mov_b32 s68, 0
	s_mov_b64 s[66:67], -1
	s_waitcnt lgkmcnt(0)
	flat_load_dword v0, v[0:1] glc
	s_waitcnt vmcnt(0) lgkmcnt(0)
	buffer_invl2
	buffer_wbinvl1_vol
	v_cmp_eq_u32_e32 vcc, 0, v0
	s_and_b64 vcc, vcc, exec
	s_or_b64 s[64:65], s[64:65], vcc
.LBB16_437:                             ;   in Loop: Header=BB16_435 Depth=3
	s_andn2_b64 s[62:63], s[62:63], exec
	s_and_b64 s[66:67], s[66:67], exec
	s_mov_b64 vcc, -1
	s_or_b64 s[62:63], s[62:63], s[66:67]
	s_and_saveexec_b64 s[66:67], s[64:65]
	s_cbranch_execz .LBB16_434
; %bb.438:                              ;   in Loop: Header=BB16_435 Depth=3
	s_sleep 1
	s_trap 2
	ds_read_b64 v[0:1], v0
	s_andn2_b64 s[62:63], s[62:63], exec
	s_waitcnt lgkmcnt(0)
	v_cmp_ge_u64_e32 vcc, v[0:1], v[34:35]
	s_orn2_b64 vcc, vcc, exec
	s_branch .LBB16_434
.LBB16_439:                             ;   in Loop: Header=BB16_405 Depth=2
	s_or_b64 exec, exec, s[58:59]
	s_and_saveexec_b64 vcc, s[60:61]
	s_xor_b64 vcc, exec, vcc
	s_cbranch_execz .LBB16_441
; %bb.440:                              ;   in Loop: Header=BB16_405 Depth=2
	ds_write_b32 v0, v53
	s_trap 2
.LBB16_441:                             ;   in Loop: Header=BB16_405 Depth=2
	s_or_b64 exec, exec, s[56:57]
	;;#ASMSTART
	s_wakeup
	;;#ASMEND
.LBB16_442:                             ;   in Loop: Header=BB16_405 Depth=2
	s_or_b64 exec, exec, s[54:55]
.LBB16_443:                             ;   in Loop: Header=BB16_405 Depth=2
	s_andn2_saveexec_b64 vcc, s[36:37]
	s_cbranch_execz .LBB16_445
; %bb.444:                              ;   in Loop: Header=BB16_405 Depth=2
	s_waitcnt vmcnt(0) lgkmcnt(0)
	buffer_wbinvl1_vol
	s_barrier
.LBB16_445:                             ;   in Loop: Header=BB16_405 Depth=2
	s_or_b64 exec, exec, vcc
.LBB16_446:                             ;   in Loop: Header=BB16_405 Depth=2
	s_or_b64 exec, exec, s[28:29]
	v_and_b32_e32 v1, 16, v62
	s_and_saveexec_b64 s[28:29], s[24:25]
	s_xor_b64 s[28:29], exec, s[28:29]
	s_cbranch_execz .LBB16_451
; %bb.447:                              ;   in Loop: Header=BB16_405 Depth=2
	s_trap 2
	ds_read_b32 v0, v0
	v_cmp_lt_i32_e32 vcc, 0, v58
	v_and_b32_e32 v2, 16, v62
	v_and_b32_e32 v1, 16, v62
	s_waitcnt lgkmcnt(0)
	v_readfirstlane_b32 s36, v0
	s_cmp_eq_u32 s36, 0
	s_cselect_b64 s[36:37], -1, 0
	s_and_b64 s[36:37], vcc, s[36:37]
	v_cmp_ne_u32_e32 vcc, 0, v2
	s_and_b64 s[36:37], vcc, s[36:37]
	s_and_saveexec_b64 vcc, s[36:37]
	s_cbranch_execz .LBB16_449
; %bb.448:                              ;   in Loop: Header=BB16_405 Depth=2
	v_mov_b32_e32 v1, 1
	s_waitcnt vmcnt(0)
	buffer_wbinvl1_vol
.LBB16_449:                             ;   in Loop: Header=BB16_405 Depth=2
	s_or_b64 exec, exec, vcc
	s_andn2_saveexec_b64 s[28:29], s[28:29]
	s_cbranch_execnz .LBB16_452
.LBB16_450:                             ;   in Loop: Header=BB16_405 Depth=2
	s_or_b64 exec, exec, s[28:29]
	v_cmp_ne_u32_e32 vcc, 0, v1
	s_and_saveexec_b64 s[28:29], vcc
	s_cbranch_execz .LBB16_404
	s_branch .LBB16_470
.LBB16_451:                             ;   in Loop: Header=BB16_405 Depth=2
	s_andn2_saveexec_b64 s[28:29], s[28:29]
	s_cbranch_execz .LBB16_450
.LBB16_452:                             ;   in Loop: Header=BB16_405 Depth=2
	s_and_saveexec_b64 vcc, s[46:47]
	s_xor_b64 s[36:37], exec, vcc
	s_cbranch_execz .LBB16_467
; %bb.453:                              ;   in Loop: Header=BB16_405 Depth=2
	s_and_saveexec_b64 s[54:55], s[16:17]
	s_cbranch_execz .LBB16_466
; %bb.454:                              ;   in Loop: Header=BB16_405 Depth=2
	s_mov_b64 s[58:59], exec
	v_mbcnt_lo_u32_b32 v0, s58, 0
	v_mbcnt_hi_u32_b32 v0, s59, v0
	v_cmp_eq_u32_e32 vcc, 0, v0
	;;#ASMSTART
	s_waitcnt lgkmcnt(0) vmcnt(0)
	;;#ASMEND
	s_and_saveexec_b64 s[56:57], vcc
	s_cbranch_execz .LBB16_456
; %bb.455:                              ;   in Loop: Header=BB16_405 Depth=2
	s_bcnt1_i32_b64 vcc_lo, s[58:59]
	v_mov_b32_e32 v20, vcc_lo
	ds_add_u64 v0, v[20:21]
	s_trap 2
.LBB16_456:                             ;   in Loop: Header=BB16_405 Depth=2
	s_or_b64 exec, exec, s[56:57]
	s_trap 2
	ds_read_b64 v[2:3], v0
	v_add_co_u32_e32 v34, vcc, v34, v42
	v_addc_co_u32_e32 v35, vcc, 0, v35, vcc
	s_waitcnt lgkmcnt(0)
	v_cmp_lt_u64_e32 vcc, v[2:3], v[34:35]
	s_and_saveexec_b64 s[56:57], vcc
	s_cbranch_execz .LBB16_465
; %bb.457:                              ;   in Loop: Header=BB16_405 Depth=2
	s_mov_b32 s68, 0
	s_mov_b64 s[58:59], 0
                                        ; implicit-def: $sgpr60_sgpr61
                                        ; implicit-def: $sgpr62_sgpr63
	s_branch .LBB16_459
.LBB16_458:                             ;   in Loop: Header=BB16_459 Depth=3
	s_or_b64 exec, exec, s[66:67]
	s_and_b64 vcc, exec, vcc
	s_or_b64 s[58:59], vcc, s[58:59]
	s_andn2_b64 vcc, s[60:61], exec
	s_and_b64 s[60:61], s[62:63], exec
	s_or_b64 s[60:61], vcc, s[60:61]
	s_andn2_b64 exec, exec, s[58:59]
	s_cbranch_execz .LBB16_463
.LBB16_459:                             ;   Parent Loop BB16_81 Depth=1
                                        ;     Parent Loop BB16_405 Depth=2
                                        ; =>    This Inner Loop Header: Depth=3
	s_add_i32 s68, s68, 1
	s_cmpk_lg_i32 s68, 0x2710
	s_cselect_b64 s[64:65], -1, 0
	s_and_b64 vcc, exec, s[64:65]
                                        ; implicit-def: $sgpr66_sgpr67
	s_cbranch_vccnz .LBB16_461
; %bb.460:                              ;   in Loop: Header=BB16_459 Depth=3
	s_trap 2
	ds_read_b64 v[2:3], v0
	s_andn2_b64 s[64:65], s[64:65], exec
	s_mov_b32 s68, 0
	s_mov_b64 s[66:67], -1
	s_waitcnt vmcnt(0) lgkmcnt(0)
	flat_load_dword v0, v[2:3] glc
	s_waitcnt vmcnt(0) lgkmcnt(0)
	buffer_invl2
	buffer_wbinvl1_vol
	v_cmp_eq_u32_e32 vcc, 0, v0
	s_and_b64 vcc, vcc, exec
	s_or_b64 s[64:65], s[64:65], vcc
.LBB16_461:                             ;   in Loop: Header=BB16_459 Depth=3
	s_andn2_b64 s[62:63], s[62:63], exec
	s_and_b64 s[66:67], s[66:67], exec
	s_mov_b64 vcc, -1
	s_or_b64 s[62:63], s[62:63], s[66:67]
	s_and_saveexec_b64 s[66:67], s[64:65]
	s_cbranch_execz .LBB16_458
; %bb.462:                              ;   in Loop: Header=BB16_459 Depth=3
	s_sleep 1
	s_trap 2
	ds_read_b64 v[2:3], v0
	s_andn2_b64 s[62:63], s[62:63], exec
	s_waitcnt lgkmcnt(0)
	v_cmp_ge_u64_e32 vcc, v[2:3], v[34:35]
	s_orn2_b64 vcc, vcc, exec
	s_branch .LBB16_458
.LBB16_463:                             ;   in Loop: Header=BB16_405 Depth=2
	s_or_b64 exec, exec, s[58:59]
	s_and_saveexec_b64 vcc, s[60:61]
	s_xor_b64 vcc, exec, vcc
	s_cbranch_execz .LBB16_465
; %bb.464:                              ;   in Loop: Header=BB16_405 Depth=2
	ds_write_b32 v0, v53
	s_trap 2
.LBB16_465:                             ;   in Loop: Header=BB16_405 Depth=2
	s_or_b64 exec, exec, s[56:57]
	;;#ASMSTART
	s_wakeup
	;;#ASMEND
.LBB16_466:                             ;   in Loop: Header=BB16_405 Depth=2
	s_or_b64 exec, exec, s[54:55]
.LBB16_467:                             ;   in Loop: Header=BB16_405 Depth=2
	s_andn2_saveexec_b64 vcc, s[36:37]
	s_cbranch_execz .LBB16_469
; %bb.468:                              ;   in Loop: Header=BB16_405 Depth=2
	;;#ASMSTART
	s_waitcnt lgkmcnt(0) vmcnt(0)
	;;#ASMEND
	s_barrier
.LBB16_469:                             ;   in Loop: Header=BB16_405 Depth=2
	s_or_b64 exec, exec, vcc
	s_or_b64 exec, exec, s[28:29]
	v_cmp_ne_u32_e32 vcc, 0, v1
	s_and_saveexec_b64 s[28:29], vcc
	s_cbranch_execz .LBB16_404
.LBB16_470:                             ;   in Loop: Header=BB16_405 Depth=2
	s_and_saveexec_b64 vcc, s[14:15]
	s_cbranch_execz .LBB16_403
; %bb.471:                              ;   in Loop: Header=BB16_405 Depth=2
	flat_store_dword v[46:47], v53
	s_branch .LBB16_403
.LBB16_472:                             ;   in Loop: Header=BB16_81 Depth=1
	s_or_b64 exec, exec, s[36:37]
.LBB16_473:                             ;   in Loop: Header=BB16_81 Depth=1
	s_or_b64 exec, exec, s[34:35]
	v_cmp_gt_i32_e32 vcc, 2, v0
	s_and_saveexec_b64 s[34:35], vcc
	s_cbranch_execz .LBB16_548
; %bb.474:                              ;   in Loop: Header=BB16_81 Depth=1
	v_cmp_eq_u32_e64 s[28:29], 0, v0
	s_mov_b64 s[36:37], 0
	s_branch .LBB16_477
.LBB16_475:                             ;   in Loop: Header=BB16_477 Depth=2
	s_or_b64 exec, exec, vcc
	v_add_co_u32_e32 v26, vcc, 2, v26
	v_addc_co_u32_e32 v27, vcc, 0, v27, vcc
	flat_store_dwordx2 v[28:29], v[26:27]
.LBB16_476:                             ;   in Loop: Header=BB16_477 Depth=2
	s_or_b64 exec, exec, s[28:29]
	v_add_u32_e32 v6, v2, v6
	s_mov_b64 s[28:29], 0
	s_andn2_b64 exec, exec, s[36:37]
	s_cbranch_execz .LBB16_547
.LBB16_477:                             ;   Parent Loop BB16_81 Depth=1
                                        ; =>  This Loop Header: Depth=2
                                        ;       Child Loop BB16_483 Depth 3
                                        ;       Child Loop BB16_507 Depth 3
                                        ;       Child Loop BB16_531 Depth 3
	v_and_b32_e32 v0, 8, v62
	s_mov_b64 s[54:55], -1
	v_cmp_ne_u32_e32 vcc, 0, v0
	s_and_saveexec_b64 s[52:53], vcc
	s_cbranch_execz .LBB16_489
; %bb.478:                              ;   in Loop: Header=BB16_477 Depth=2
	v_add_co_u32_e32 v0, vcc, 8, v38
	v_addc_co_u32_e32 v1, vcc, 0, v39, vcc
	v_add_co_u32_e32 v4, vcc, 2, v26
	v_addc_co_u32_e32 v5, vcc, 0, v27, vcc
	v_cmp_lt_u64_e32 vcc, v[0:1], v[4:5]
	v_mov_b32_e32 v0, 1
	s_and_saveexec_b64 s[54:55], vcc
	s_cbranch_execz .LBB16_488
; %bb.479:                              ;   in Loop: Header=BB16_477 Depth=2
	s_mov_b64 s[56:57], 0
	v_mov_b32_e32 v0, 0
                                        ; implicit-def: $sgpr58_sgpr59
	s_branch .LBB16_483
.LBB16_480:                             ;   in Loop: Header=BB16_483 Depth=3
	s_or_b64 exec, exec, s[66:67]
	v_mov_b32_e32 v1, 0
	s_orn2_b64 s[64:65], s[64:65], exec
.LBB16_481:                             ;   in Loop: Header=BB16_483 Depth=3
	s_or_b64 exec, exec, s[62:63]
	s_andn2_b64 vcc, s[58:59], exec
	s_and_b64 s[58:59], s[64:65], exec
	s_or_b64 s[58:59], vcc, s[58:59]
	v_mov_b32_e32 v0, v1
.LBB16_482:                             ;   in Loop: Header=BB16_483 Depth=3
	s_or_b64 exec, exec, s[60:61]
	s_waitcnt vmcnt(0) lgkmcnt(0)
	v_add_co_u32_e32 v10, vcc, 8, v38
	v_addc_co_u32_e32 v11, vcc, 0, v39, vcc
	v_cmp_ge_u64_e32 vcc, v[10:11], v[4:5]
	s_xor_b64 s[60:61], s[58:59], -1
	s_or_b64 vcc, s[60:61], vcc
	s_and_b64 vcc, exec, vcc
	s_or_b64 s[56:57], vcc, s[56:57]
	s_andn2_b64 exec, exec, s[56:57]
	s_cbranch_execz .LBB16_487
.LBB16_483:                             ;   Parent Loop BB16_81 Depth=1
                                        ;     Parent Loop BB16_477 Depth=2
                                        ; =>    This Inner Loop Header: Depth=3
	s_sleep 1
	flat_load_dwordx2 v[38:39], v[28:29] glc
	v_and_b32_e32 v1, 64, v62
	v_cmp_eq_u32_e32 vcc, 0, v1
	s_andn2_b64 s[58:59], s[58:59], exec
	s_and_saveexec_b64 s[60:61], vcc
	s_cbranch_execz .LBB16_482
; %bb.484:                              ;   in Loop: Header=BB16_483 Depth=3
	v_add_u32_e32 v1, 1, v0
	v_cmp_lt_i32_e32 vcc, s73, v0
	s_mov_b64 s[64:65], -1
	s_and_saveexec_b64 s[62:63], vcc
	s_cbranch_execz .LBB16_481
; %bb.485:                              ;   in Loop: Header=BB16_483 Depth=3
	s_trap 2
	ds_read_b64 v[0:1], v0
	s_waitcnt vmcnt(0) lgkmcnt(0)
	flat_load_dword v0, v[0:1] glc
	s_waitcnt vmcnt(0) lgkmcnt(0)
	buffer_invl2
	buffer_wbinvl1_vol
	v_cmp_ne_u32_e32 vcc, 0, v0
	s_and_saveexec_b64 s[66:67], vcc
	s_cbranch_execz .LBB16_480
; %bb.486:                              ;   in Loop: Header=BB16_483 Depth=3
	v_or_b32_e32 v62, 64, v62
	s_xor_b64 s[64:65], exec, -1
	ds_write_b32 v0, v0
	s_trap 2
	s_branch .LBB16_480
.LBB16_487:                             ;   in Loop: Header=BB16_477 Depth=2
	s_or_b64 exec, exec, s[56:57]
	v_and_b32_e32 v0, 8, v62
.LBB16_488:                             ;   in Loop: Header=BB16_477 Depth=2
	s_or_b64 exec, exec, s[54:55]
	v_cmp_eq_u32_e32 vcc, 0, v0
	s_orn2_b64 s[54:55], vcc, exec
	;;#ASMSTART
	s_wakeup
	;;#ASMEND
.LBB16_489:                             ;   in Loop: Header=BB16_477 Depth=2
	s_or_b64 exec, exec, s[52:53]
	s_xor_b64 s[28:29], s[28:29], -1
	s_and_b64 s[28:29], exec, s[28:29]
	s_or_b64 s[36:37], s[28:29], s[36:37]
	v_sub_u32_e32 v0, v13, v6
	s_xor_b64 s[28:29], s[54:55], -1
	v_min_i32_e32 v2, v2, v0
	s_and_saveexec_b64 s[52:53], s[28:29]
	s_cbranch_execz .LBB16_499
; %bb.490:                              ;   in Loop: Header=BB16_477 Depth=2
	v_and_b32_e32 v0, 0x100, v62
	v_cmp_ne_u32_e32 vcc, 0, v0
	v_and_b32_e32 v0, 7, v26
	s_mov_b64 s[28:29], -1
                                        ; implicit-def: $vgpr4_vgpr5
	s_and_saveexec_b64 s[54:55], vcc
	s_cbranch_execz .LBB16_494
; %bb.491:                              ;   in Loop: Header=BB16_477 Depth=2
	v_mad_u64_u32 v[14:15], s[28:29], v0, 24, v[40:41]
	flat_load_dword v1, v[14:15]
	v_ashrrev_i32_e32 v3, 31, v2
	flat_store_dwordx2 v[14:15], v[2:3] offset:8
                                        ; implicit-def: $vgpr4_vgpr5
	s_waitcnt vmcnt(0) lgkmcnt(0)
	v_cmp_ne_u32_e32 vcc, 1, v1
	v_cmp_eq_u32_e64 s[28:29], 1, v1
	s_and_saveexec_b64 s[56:57], s[28:29]
	s_cbranch_execz .LBB16_493
; %bb.492:                              ;   in Loop: Header=BB16_477 Depth=2
	flat_load_dword v4, v[14:15] offset:4 glc
	s_waitcnt vmcnt(0) lgkmcnt(0)
	v_ashrrev_i32_e32 v5, 31, v4
.LBB16_493:                             ;   in Loop: Header=BB16_477 Depth=2
	s_or_b64 exec, exec, s[56:57]
	s_orn2_b64 s[28:29], vcc, exec
.LBB16_494:                             ;   in Loop: Header=BB16_477 Depth=2
	s_or_b64 exec, exec, s[54:55]
	s_and_saveexec_b64 vcc, s[28:29]
; %bb.495:                              ;   in Loop: Header=BB16_477 Depth=2
	v_mad_i64_i32 v[4:5], s[28:29], v0, v54, 0
; %bb.496:                              ;   in Loop: Header=BB16_477 Depth=2
	s_or_b64 exec, exec, vcc
	v_add_co_u32_e32 v0, vcc, v44, v4
	v_addc_co_u32_e32 v1, vcc, v45, v5, vcc
	ds_write_b64 v0, v[0:1] offset:784
	v_and_b32_e32 v0, 0x2000, v62
	v_cmp_ne_u32_e32 vcc, 0, v0
	s_and_saveexec_b64 s[28:29], vcc
	s_cbranch_execz .LBB16_498
; %bb.497:                              ;   in Loop: Header=BB16_477 Depth=2
	ds_read_b64 v[0:1], v0 offset:584
	s_waitcnt lgkmcnt(0)
	v_add_co_u32_e32 v0, vcc, 1, v0
	v_addc_co_u32_e32 v1, vcc, 0, v1, vcc
	ds_write_b64 v0, v[0:1] offset:584
.LBB16_498:                             ;   in Loop: Header=BB16_477 Depth=2
	s_or_b64 exec, exec, s[28:29]
	v_add_co_u32_e32 v26, vcc, 2, v26
	v_addc_co_u32_e32 v27, vcc, 0, v27, vcc
.LBB16_499:                             ;   in Loop: Header=BB16_477 Depth=2
	s_or_b64 exec, exec, s[52:53]
	s_and_saveexec_b64 s[28:29], s[10:11]
	s_cbranch_execz .LBB16_518
; %bb.500:                              ;   in Loop: Header=BB16_477 Depth=2
	s_and_saveexec_b64 vcc, s[46:47]
	s_xor_b64 s[52:53], exec, vcc
	s_cbranch_execz .LBB16_515
; %bb.501:                              ;   in Loop: Header=BB16_477 Depth=2
	s_and_saveexec_b64 s[54:55], s[16:17]
	s_cbranch_execz .LBB16_514
; %bb.502:                              ;   in Loop: Header=BB16_477 Depth=2
	s_mov_b64 s[58:59], exec
	v_mbcnt_lo_u32_b32 v0, s58, 0
	v_mbcnt_hi_u32_b32 v0, s59, v0
	v_cmp_eq_u32_e32 vcc, 0, v0
	s_waitcnt vmcnt(0) lgkmcnt(0)
	buffer_wbinvl1_vol
	s_and_saveexec_b64 s[56:57], vcc
	s_cbranch_execz .LBB16_504
; %bb.503:                              ;   in Loop: Header=BB16_477 Depth=2
	s_bcnt1_i32_b64 vcc_lo, s[58:59]
	v_mov_b32_e32 v20, vcc_lo
	ds_add_u64 v0, v[20:21]
	s_trap 2
.LBB16_504:                             ;   in Loop: Header=BB16_477 Depth=2
	s_or_b64 exec, exec, s[56:57]
	s_trap 2
	ds_read_b64 v[0:1], v0
	v_add_co_u32_e32 v34, vcc, v34, v42
	v_addc_co_u32_e32 v35, vcc, 0, v35, vcc
	s_waitcnt lgkmcnt(0)
	v_cmp_lt_u64_e32 vcc, v[0:1], v[34:35]
	s_and_saveexec_b64 s[56:57], vcc
	s_cbranch_execz .LBB16_513
; %bb.505:                              ;   in Loop: Header=BB16_477 Depth=2
	s_mov_b32 s68, 0
	s_mov_b64 s[58:59], 0
                                        ; implicit-def: $sgpr60_sgpr61
                                        ; implicit-def: $sgpr62_sgpr63
	s_branch .LBB16_507
.LBB16_506:                             ;   in Loop: Header=BB16_507 Depth=3
	s_or_b64 exec, exec, s[66:67]
	s_and_b64 vcc, exec, vcc
	s_or_b64 s[58:59], vcc, s[58:59]
	s_andn2_b64 vcc, s[60:61], exec
	s_and_b64 s[60:61], s[62:63], exec
	s_or_b64 s[60:61], vcc, s[60:61]
	s_andn2_b64 exec, exec, s[58:59]
	s_cbranch_execz .LBB16_511
.LBB16_507:                             ;   Parent Loop BB16_81 Depth=1
                                        ;     Parent Loop BB16_477 Depth=2
                                        ; =>    This Inner Loop Header: Depth=3
	s_add_i32 s68, s68, 1
	s_cmpk_lg_i32 s68, 0x2710
	s_cselect_b64 s[64:65], -1, 0
	s_and_b64 vcc, exec, s[64:65]
                                        ; implicit-def: $sgpr66_sgpr67
	s_cbranch_vccnz .LBB16_509
; %bb.508:                              ;   in Loop: Header=BB16_507 Depth=3
	s_trap 2
	ds_read_b64 v[0:1], v0
	s_andn2_b64 s[64:65], s[64:65], exec
	s_mov_b32 s68, 0
	s_mov_b64 s[66:67], -1
	s_waitcnt lgkmcnt(0)
	flat_load_dword v0, v[0:1] glc
	s_waitcnt vmcnt(0) lgkmcnt(0)
	buffer_invl2
	buffer_wbinvl1_vol
	v_cmp_eq_u32_e32 vcc, 0, v0
	s_and_b64 vcc, vcc, exec
	s_or_b64 s[64:65], s[64:65], vcc
.LBB16_509:                             ;   in Loop: Header=BB16_507 Depth=3
	s_andn2_b64 s[62:63], s[62:63], exec
	s_and_b64 s[66:67], s[66:67], exec
	s_mov_b64 vcc, -1
	s_or_b64 s[62:63], s[62:63], s[66:67]
	s_and_saveexec_b64 s[66:67], s[64:65]
	s_cbranch_execz .LBB16_506
; %bb.510:                              ;   in Loop: Header=BB16_507 Depth=3
	s_sleep 1
	s_trap 2
	ds_read_b64 v[0:1], v0
	s_andn2_b64 s[62:63], s[62:63], exec
	s_waitcnt lgkmcnt(0)
	v_cmp_ge_u64_e32 vcc, v[0:1], v[34:35]
	s_orn2_b64 vcc, vcc, exec
	s_branch .LBB16_506
.LBB16_511:                             ;   in Loop: Header=BB16_477 Depth=2
	s_or_b64 exec, exec, s[58:59]
	s_and_saveexec_b64 vcc, s[60:61]
	s_xor_b64 vcc, exec, vcc
	s_cbranch_execz .LBB16_513
; %bb.512:                              ;   in Loop: Header=BB16_477 Depth=2
	ds_write_b32 v0, v53
	s_trap 2
.LBB16_513:                             ;   in Loop: Header=BB16_477 Depth=2
	s_or_b64 exec, exec, s[56:57]
	;;#ASMSTART
	s_wakeup
	;;#ASMEND
.LBB16_514:                             ;   in Loop: Header=BB16_477 Depth=2
	s_or_b64 exec, exec, s[54:55]
.LBB16_515:                             ;   in Loop: Header=BB16_477 Depth=2
	s_andn2_saveexec_b64 vcc, s[52:53]
	s_cbranch_execz .LBB16_517
; %bb.516:                              ;   in Loop: Header=BB16_477 Depth=2
	s_waitcnt vmcnt(0) lgkmcnt(0)
	buffer_wbinvl1_vol
	s_barrier
.LBB16_517:                             ;   in Loop: Header=BB16_477 Depth=2
	s_or_b64 exec, exec, vcc
.LBB16_518:                             ;   in Loop: Header=BB16_477 Depth=2
	s_or_b64 exec, exec, s[28:29]
	v_and_b32_e32 v1, 16, v62
	s_and_saveexec_b64 s[28:29], s[24:25]
	s_xor_b64 s[28:29], exec, s[28:29]
	s_cbranch_execz .LBB16_523
; %bb.519:                              ;   in Loop: Header=BB16_477 Depth=2
	s_trap 2
	ds_read_b32 v0, v0
	v_cmp_lt_i32_e32 vcc, 0, v2
	v_and_b32_e32 v3, 16, v62
	v_and_b32_e32 v1, 16, v62
	s_waitcnt lgkmcnt(0)
	v_readfirstlane_b32 s52, v0
	s_cmp_eq_u32 s52, 0
	s_cselect_b64 s[52:53], -1, 0
	s_and_b64 s[52:53], vcc, s[52:53]
	v_cmp_ne_u32_e32 vcc, 0, v3
	s_and_b64 s[52:53], vcc, s[52:53]
	s_and_saveexec_b64 vcc, s[52:53]
	s_cbranch_execz .LBB16_521
; %bb.520:                              ;   in Loop: Header=BB16_477 Depth=2
	v_mov_b32_e32 v1, 1
	s_waitcnt vmcnt(0)
	buffer_wbinvl1_vol
.LBB16_521:                             ;   in Loop: Header=BB16_477 Depth=2
	s_or_b64 exec, exec, vcc
	s_andn2_saveexec_b64 s[28:29], s[28:29]
	s_cbranch_execnz .LBB16_524
.LBB16_522:                             ;   in Loop: Header=BB16_477 Depth=2
	s_or_b64 exec, exec, s[28:29]
	v_cmp_ne_u32_e32 vcc, 0, v1
	s_and_saveexec_b64 s[28:29], vcc
	s_cbranch_execz .LBB16_476
	s_branch .LBB16_542
.LBB16_523:                             ;   in Loop: Header=BB16_477 Depth=2
	s_andn2_saveexec_b64 s[28:29], s[28:29]
	s_cbranch_execz .LBB16_522
.LBB16_524:                             ;   in Loop: Header=BB16_477 Depth=2
	s_and_saveexec_b64 vcc, s[46:47]
	s_xor_b64 s[52:53], exec, vcc
	s_cbranch_execz .LBB16_539
; %bb.525:                              ;   in Loop: Header=BB16_477 Depth=2
	s_and_saveexec_b64 s[54:55], s[16:17]
	s_cbranch_execz .LBB16_538
; %bb.526:                              ;   in Loop: Header=BB16_477 Depth=2
	s_mov_b64 s[58:59], exec
	v_mbcnt_lo_u32_b32 v0, s58, 0
	v_mbcnt_hi_u32_b32 v0, s59, v0
	v_cmp_eq_u32_e32 vcc, 0, v0
	;;#ASMSTART
	s_waitcnt lgkmcnt(0) vmcnt(0)
	;;#ASMEND
	s_and_saveexec_b64 s[56:57], vcc
	s_cbranch_execz .LBB16_528
; %bb.527:                              ;   in Loop: Header=BB16_477 Depth=2
	s_bcnt1_i32_b64 vcc_lo, s[58:59]
	v_mov_b32_e32 v20, vcc_lo
	ds_add_u64 v0, v[20:21]
	s_trap 2
.LBB16_528:                             ;   in Loop: Header=BB16_477 Depth=2
	s_or_b64 exec, exec, s[56:57]
	s_trap 2
	ds_read_b64 v[4:5], v0
	v_add_co_u32_e32 v34, vcc, v34, v42
	v_addc_co_u32_e32 v35, vcc, 0, v35, vcc
	s_waitcnt lgkmcnt(0)
	v_cmp_lt_u64_e32 vcc, v[4:5], v[34:35]
	s_and_saveexec_b64 s[56:57], vcc
	s_cbranch_execz .LBB16_537
; %bb.529:                              ;   in Loop: Header=BB16_477 Depth=2
	s_mov_b32 s68, 0
	s_mov_b64 s[58:59], 0
                                        ; implicit-def: $sgpr60_sgpr61
                                        ; implicit-def: $sgpr62_sgpr63
	s_branch .LBB16_531
.LBB16_530:                             ;   in Loop: Header=BB16_531 Depth=3
	s_or_b64 exec, exec, s[66:67]
	s_and_b64 vcc, exec, vcc
	s_or_b64 s[58:59], vcc, s[58:59]
	s_andn2_b64 vcc, s[60:61], exec
	s_and_b64 s[60:61], s[62:63], exec
	s_or_b64 s[60:61], vcc, s[60:61]
	s_andn2_b64 exec, exec, s[58:59]
	s_cbranch_execz .LBB16_535
.LBB16_531:                             ;   Parent Loop BB16_81 Depth=1
                                        ;     Parent Loop BB16_477 Depth=2
                                        ; =>    This Inner Loop Header: Depth=3
	s_add_i32 s68, s68, 1
	s_cmpk_lg_i32 s68, 0x2710
	s_cselect_b64 s[64:65], -1, 0
	s_and_b64 vcc, exec, s[64:65]
                                        ; implicit-def: $sgpr66_sgpr67
	s_cbranch_vccnz .LBB16_533
; %bb.532:                              ;   in Loop: Header=BB16_531 Depth=3
	s_trap 2
	ds_read_b64 v[4:5], v0
	s_andn2_b64 s[64:65], s[64:65], exec
	s_mov_b32 s68, 0
	s_mov_b64 s[66:67], -1
	s_waitcnt vmcnt(0) lgkmcnt(0)
	flat_load_dword v0, v[4:5] glc
	s_waitcnt vmcnt(0) lgkmcnt(0)
	buffer_invl2
	buffer_wbinvl1_vol
	v_cmp_eq_u32_e32 vcc, 0, v0
	s_and_b64 vcc, vcc, exec
	s_or_b64 s[64:65], s[64:65], vcc
.LBB16_533:                             ;   in Loop: Header=BB16_531 Depth=3
	s_andn2_b64 s[62:63], s[62:63], exec
	s_and_b64 s[66:67], s[66:67], exec
	s_mov_b64 vcc, -1
	s_or_b64 s[62:63], s[62:63], s[66:67]
	s_and_saveexec_b64 s[66:67], s[64:65]
	s_cbranch_execz .LBB16_530
; %bb.534:                              ;   in Loop: Header=BB16_531 Depth=3
	s_sleep 1
	s_trap 2
	ds_read_b64 v[4:5], v0
	s_andn2_b64 s[62:63], s[62:63], exec
	s_waitcnt lgkmcnt(0)
	v_cmp_ge_u64_e32 vcc, v[4:5], v[34:35]
	s_orn2_b64 vcc, vcc, exec
	s_branch .LBB16_530
.LBB16_535:                             ;   in Loop: Header=BB16_477 Depth=2
	s_or_b64 exec, exec, s[58:59]
	s_and_saveexec_b64 vcc, s[60:61]
	s_xor_b64 vcc, exec, vcc
	s_cbranch_execz .LBB16_537
; %bb.536:                              ;   in Loop: Header=BB16_477 Depth=2
	ds_write_b32 v0, v53
	s_trap 2
.LBB16_537:                             ;   in Loop: Header=BB16_477 Depth=2
	s_or_b64 exec, exec, s[56:57]
	;;#ASMSTART
	s_wakeup
	;;#ASMEND
.LBB16_538:                             ;   in Loop: Header=BB16_477 Depth=2
	s_or_b64 exec, exec, s[54:55]
.LBB16_539:                             ;   in Loop: Header=BB16_477 Depth=2
	s_andn2_saveexec_b64 vcc, s[52:53]
	s_cbranch_execz .LBB16_541
; %bb.540:                              ;   in Loop: Header=BB16_477 Depth=2
	;;#ASMSTART
	s_waitcnt lgkmcnt(0) vmcnt(0)
	;;#ASMEND
	s_barrier
.LBB16_541:                             ;   in Loop: Header=BB16_477 Depth=2
	s_or_b64 exec, exec, vcc
	s_or_b64 exec, exec, s[28:29]
	v_cmp_ne_u32_e32 vcc, 0, v1
	s_and_saveexec_b64 s[28:29], vcc
	s_cbranch_execz .LBB16_476
.LBB16_542:                             ;   in Loop: Header=BB16_477 Depth=2
	s_and_saveexec_b64 vcc, s[14:15]
	s_cbranch_execz .LBB16_475
; %bb.543:                              ;   in Loop: Header=BB16_477 Depth=2
	flat_store_dword v[46:47], v53
	s_branch .LBB16_475
.LBB16_544:                             ;   in Loop: Header=BB16_81 Depth=1
	s_or_b64 exec, exec, s[34:35]
.LBB16_545:                             ;   in Loop: Header=BB16_81 Depth=1
	s_or_b64 exec, exec, s[30:31]
	s_andn2_saveexec_b64 s[30:31], s[52:53]
	s_cbranch_execnz .LBB16_259
.LBB16_546:                             ;   in Loop: Header=BB16_81 Depth=1
	s_or_b64 exec, exec, s[30:31]
	s_andn2_b64 vcc, exec, s[48:49]
	s_cbranch_vccz .LBB16_549
	s_branch .LBB16_805
.LBB16_547:                             ;   in Loop: Header=BB16_81 Depth=1
	s_or_b64 exec, exec, s[36:37]
.LBB16_548:                             ;   in Loop: Header=BB16_81 Depth=1
	s_or_b64 exec, exec, s[34:35]
	s_or_b64 exec, exec, s[30:31]
	s_andn2_b64 vcc, exec, s[48:49]
	s_cbranch_vccnz .LBB16_805
.LBB16_549:                             ;   in Loop: Header=BB16_81 Depth=1
	s_mov_b32 s68, 1
.LBB16_550:                             ;   Parent Loop BB16_81 Depth=1
                                        ; =>  This Loop Header: Depth=2
                                        ;       Child Loop BB16_553 Depth 3
                                        ;         Child Loop BB16_561 Depth 4
                                        ;         Child Loop BB16_587 Depth 4
	;; [unrolled: 1-line block ×9, first 2 shown]
                                        ;           Child Loop BB16_647 Depth 5
                                        ;         Child Loop BB16_656 Depth 4
                                        ;         Child Loop BB16_661 Depth 4
                                        ;           Child Loop BB16_662 Depth 5
                                        ;         Child Loop BB16_634 Depth 4
                                        ;         Child Loop BB16_713 Depth 4
                                        ;       Child Loop BB16_731 Depth 3
                                        ;         Child Loop BB16_737 Depth 4
                                        ;         Child Loop BB16_775 Depth 4
	;; [unrolled: 1-line block ×3, first 2 shown]
	v_mov_b32_e32 v0, 0
	v_accvgpr_read_b32 v58, a50
	v_mov_b32_e32 v6, 0
	s_and_saveexec_b64 s[52:53], s[26:27]
	s_cbranch_execz .LBB16_728
; %bb.551:                              ;   in Loop: Header=BB16_550 Depth=2
	s_sub_i32 s28, s70, s68
	s_ashr_i32 s29, s28, 31
	s_lshl_b64 s[28:29], s[28:29], 2
	v_accvgpr_read_b32 v2, a6
	v_mov_b32_e32 v1, s29
	v_accvgpr_read_b32 v3, a7
	v_add_co_u32_e32 v0, vcc, s28, v2
	v_addc_co_u32_e32 v1, vcc, v3, v1, vcc
	flat_load_dword v0, v[0:1]
	v_accvgpr_read_b32 v4, a52
	v_accvgpr_read_b32 v2, a15
	v_accvgpr_read_b32 v3, a14
	v_accvgpr_read_b32 v5, a53
	s_mov_b32 s69, 1
	s_mov_b64 s[56:57], -1
	s_mov_b64 s[54:55], 0
	v_mov_b32_e32 v6, 0
	v_accvgpr_read_b32 v58, a50
	s_waitcnt vmcnt(0) lgkmcnt(0)
	v_ashrrev_i32_e32 v1, 31, v0
	v_mul_lo_u32 v2, v2, v0
	v_mad_u64_u32 v[4:5], s[28:29], v3, v0, v[4:5]
	v_mul_lo_u32 v0, v3, v1
	v_add3_u32 v5, v2, v5, v0
	v_accvgpr_write_b32 a55, v5
	v_accvgpr_write_b32 a54, v4
	s_branch .LBB16_553
.LBB16_552:                             ;   in Loop: Header=BB16_553 Depth=3
	s_or_b64 exec, exec, s[28:29]
	v_add_u32_e32 v6, v58, v6
	v_cmp_ge_i32_e32 vcc, v6, v13
	s_xor_b64 s[28:29], s[56:57], -1
	s_or_b64 s[28:29], s[28:29], vcc
	s_and_b64 s[28:29], exec, s[28:29]
	s_or_b64 s[54:55], s[28:29], s[54:55]
	s_mov_b64 s[56:57], 0
	v_mov_b32_e32 v0, s69
	s_mov_b32 s69, 2
	s_andn2_b64 exec, exec, s[54:55]
	s_cbranch_execz .LBB16_801
.LBB16_553:                             ;   Parent Loop BB16_81 Depth=1
                                        ;     Parent Loop BB16_550 Depth=2
                                        ; =>    This Loop Header: Depth=3
                                        ;         Child Loop BB16_561 Depth 4
                                        ;         Child Loop BB16_587 Depth 4
	;; [unrolled: 1-line block ×9, first 2 shown]
                                        ;           Child Loop BB16_647 Depth 5
                                        ;         Child Loop BB16_656 Depth 4
                                        ;         Child Loop BB16_661 Depth 4
                                        ;           Child Loop BB16_662 Depth 5
                                        ;         Child Loop BB16_634 Depth 4
                                        ;         Child Loop BB16_713 Depth 4
	s_and_saveexec_b64 s[28:29], s[4:5]
	s_cbranch_execz .LBB16_555
; %bb.554:                              ;   in Loop: Header=BB16_553 Depth=3
	s_trap 2
	ds_read_b128 v[0:3], v0
	v_accvgpr_read_b32 v10, a54
	v_accvgpr_read_b32 v11, a55
	v_ashrrev_i32_e32 v4, 31, v6
	s_waitcnt lgkmcnt(0)
	v_add_co_u32_e32 v0, vcc, v0, v10
	v_addc_co_u32_e32 v1, vcc, v1, v11, vcc
	v_add_co_u32_e32 v0, vcc, v0, v6
	v_addc_co_u32_e32 v1, vcc, v1, v4, vcc
	ds_write_b64 v0, v[0:1]
	v_add_co_u32_e32 v0, vcc, v2, v10
	v_addc_co_u32_e32 v1, vcc, v3, v11, vcc
	v_add_co_u32_e32 v0, vcc, v0, v6
	v_addc_co_u32_e32 v1, vcc, v1, v4, vcc
	v_cmp_ne_u64_e32 vcc, 0, v[2:3]
	v_cndmask_b32_e32 v1, 0, v1, vcc
	v_cndmask_b32_e32 v0, 0, v0, vcc
	ds_write_b64 v0, v[0:1]
.LBB16_555:                             ;   in Loop: Header=BB16_553 Depth=3
	s_or_b64 exec, exec, s[28:29]
	v_and_b32_e32 v0, 12, v62
	v_cmp_ne_u32_e32 vcc, 0, v0
	s_mov_b64 s[30:31], -1
	s_and_saveexec_b64 s[28:29], vcc
	s_cbranch_execz .LBB16_567
; %bb.556:                              ;   in Loop: Header=BB16_553 Depth=3
	v_and_b32_e32 v2, 8, v62
	v_add_co_u32_e32 v0, vcc, v38, v2
	v_addc_co_u32_e32 v1, vcc, 0, v39, vcc
	v_add_co_u32_e32 v4, vcc, 2, v26
	v_addc_co_u32_e32 v5, vcc, 0, v27, vcc
	v_cmp_lt_u64_e32 vcc, v[0:1], v[4:5]
	v_mov_b32_e32 v0, 1
	s_and_saveexec_b64 s[30:31], vcc
	s_cbranch_execz .LBB16_566
; %bb.557:                              ;   in Loop: Header=BB16_553 Depth=3
	s_mov_b64 s[34:35], 0
	v_mov_b32_e32 v0, 0
                                        ; implicit-def: $sgpr36_sgpr37
	s_branch .LBB16_561
.LBB16_558:                             ;   in Loop: Header=BB16_561 Depth=4
	s_or_b64 exec, exec, s[64:65]
	v_mov_b32_e32 v1, 0
	s_orn2_b64 s[62:63], s[62:63], exec
.LBB16_559:                             ;   in Loop: Header=BB16_561 Depth=4
	s_or_b64 exec, exec, s[60:61]
	s_andn2_b64 vcc, s[36:37], exec
	s_and_b64 s[36:37], s[62:63], exec
	s_or_b64 s[36:37], vcc, s[36:37]
	v_mov_b32_e32 v0, v1
.LBB16_560:                             ;   in Loop: Header=BB16_561 Depth=4
	s_or_b64 exec, exec, s[58:59]
	s_waitcnt vmcnt(0) lgkmcnt(0)
	v_add_co_u32_e32 v10, vcc, v38, v2
	v_addc_co_u32_e32 v11, vcc, 0, v39, vcc
	v_cmp_ge_u64_e32 vcc, v[10:11], v[4:5]
	s_xor_b64 s[58:59], s[36:37], -1
	s_or_b64 vcc, s[58:59], vcc
	s_and_b64 vcc, exec, vcc
	s_or_b64 s[34:35], vcc, s[34:35]
	s_andn2_b64 exec, exec, s[34:35]
	s_cbranch_execz .LBB16_565
.LBB16_561:                             ;   Parent Loop BB16_81 Depth=1
                                        ;     Parent Loop BB16_550 Depth=2
                                        ;       Parent Loop BB16_553 Depth=3
                                        ; =>      This Inner Loop Header: Depth=4
	s_sleep 1
	flat_load_dwordx2 v[38:39], v[28:29] glc
	v_and_b32_e32 v1, 64, v62
	v_cmp_eq_u32_e32 vcc, 0, v1
	s_andn2_b64 s[36:37], s[36:37], exec
	s_and_saveexec_b64 s[58:59], vcc
	s_cbranch_execz .LBB16_560
; %bb.562:                              ;   in Loop: Header=BB16_561 Depth=4
	v_add_u32_e32 v1, 1, v0
	v_cmp_lt_i32_e32 vcc, s73, v0
	s_mov_b64 s[62:63], -1
	s_and_saveexec_b64 s[60:61], vcc
	s_cbranch_execz .LBB16_559
; %bb.563:                              ;   in Loop: Header=BB16_561 Depth=4
	s_trap 2
	ds_read_b64 v[0:1], v0
	s_waitcnt vmcnt(0) lgkmcnt(0)
	flat_load_dword v0, v[0:1] glc
	s_waitcnt vmcnt(0) lgkmcnt(0)
	buffer_invl2
	buffer_wbinvl1_vol
	v_cmp_ne_u32_e32 vcc, 0, v0
	s_and_saveexec_b64 s[64:65], vcc
	s_cbranch_execz .LBB16_558
; %bb.564:                              ;   in Loop: Header=BB16_561 Depth=4
	v_or_b32_e32 v62, 64, v62
	s_xor_b64 s[62:63], exec, -1
	ds_write_b32 v0, v0
	s_trap 2
	s_branch .LBB16_558
.LBB16_565:                             ;   in Loop: Header=BB16_553 Depth=3
	s_or_b64 exec, exec, s[34:35]
	v_and_b32_e32 v0, 12, v62
.LBB16_566:                             ;   in Loop: Header=BB16_553 Depth=3
	s_or_b64 exec, exec, s[30:31]
	v_cmp_eq_u32_e32 vcc, 0, v0
	s_orn2_b64 s[30:31], vcc, exec
	;;#ASMSTART
	s_wakeup
	;;#ASMEND
.LBB16_567:                             ;   in Loop: Header=BB16_553 Depth=3
	s_or_b64 exec, exec, s[28:29]
	v_sub_u32_e32 v0, v13, v6
	s_xor_b64 s[28:29], s[30:31], -1
	v_min_i32_e32 v58, v58, v0
	s_and_saveexec_b64 s[30:31], s[28:29]
	s_cbranch_execz .LBB16_579
; %bb.568:                              ;   in Loop: Header=BB16_553 Depth=3
	v_and_b32_e32 v0, 0x108, v62
	v_cmp_ne_u32_e32 vcc, s74, v0
	v_and_b32_e32 v2, 7, v26
	s_and_saveexec_b64 s[28:29], vcc
	s_xor_b64 s[28:29], exec, s[28:29]
	s_andn2_saveexec_b64 s[28:29], s[28:29]
	s_cbranch_execz .LBB16_570
; %bb.569:                              ;   in Loop: Header=BB16_553 Depth=3
	v_mad_u64_u32 v[0:1], vcc, v2, 24, v[40:41]
	v_ashrrev_i32_e32 v59, 31, v58
	flat_store_dwordx2 v[0:1], v[58:59] offset:8
.LBB16_570:                             ;   in Loop: Header=BB16_553 Depth=3
	s_or_b64 exec, exec, s[28:29]
	v_and_b32_e32 v0, 0x100, v62
	v_cmp_ne_u32_e32 vcc, 0, v0
	s_mov_b64 s[28:29], -1
                                        ; implicit-def: $vgpr4_vgpr5
	s_and_saveexec_b64 s[34:35], vcc
	s_cbranch_execz .LBB16_574
; %bb.571:                              ;   in Loop: Header=BB16_553 Depth=3
	v_mad_u64_u32 v[14:15], s[28:29], v2, 24, v[40:41]
	v_mov_b32_e32 v0, v15
	v_mad_u64_u32 v[0:1], s[28:29], v21, 24, v[0:1]
	v_mov_b32_e32 v15, v0
	flat_load_dword v0, v[14:15]
                                        ; implicit-def: $vgpr4_vgpr5
	s_waitcnt vmcnt(0) lgkmcnt(0)
	v_cmp_ne_u32_e32 vcc, 1, v0
	v_cmp_eq_u32_e64 s[28:29], 1, v0
	s_and_saveexec_b64 s[36:37], s[28:29]
	s_cbranch_execz .LBB16_573
; %bb.572:                              ;   in Loop: Header=BB16_553 Depth=3
	flat_load_dword v4, v[14:15] offset:4 glc
	s_waitcnt vmcnt(0) lgkmcnt(0)
	v_ashrrev_i32_e32 v5, 31, v4
.LBB16_573:                             ;   in Loop: Header=BB16_553 Depth=3
	s_or_b64 exec, exec, s[36:37]
	s_orn2_b64 s[28:29], vcc, exec
.LBB16_574:                             ;   in Loop: Header=BB16_553 Depth=3
	s_or_b64 exec, exec, s[34:35]
	s_and_saveexec_b64 vcc, s[28:29]
; %bb.575:                              ;   in Loop: Header=BB16_553 Depth=3
	v_mul_lo_u32 v0, v21, v54
	v_mul_lo_u32 v1, v2, v49
	v_mad_u64_u32 v[4:5], s[28:29], v2, v54, 0
	v_add3_u32 v5, v5, v1, v0
; %bb.576:                              ;   in Loop: Header=BB16_553 Depth=3
	s_or_b64 exec, exec, vcc
	v_add_co_u32_e32 v0, vcc, v44, v4
	v_addc_co_u32_e32 v1, vcc, v45, v5, vcc
	s_trap 2
	ds_write_b64 v0, v[0:1]
	v_and_b32_e32 v0, 0x2000, v62
	v_cmp_ne_u32_e32 vcc, 0, v0
	s_and_saveexec_b64 s[28:29], vcc
	s_cbranch_execz .LBB16_578
; %bb.577:                              ;   in Loop: Header=BB16_553 Depth=3
	ds_read_b64 v[0:1], v0 offset:584
	s_waitcnt lgkmcnt(0)
	v_add_co_u32_e32 v0, vcc, 1, v0
	v_addc_co_u32_e32 v1, vcc, 0, v1, vcc
	ds_write_b64 v0, v[0:1] offset:584
.LBB16_578:                             ;   in Loop: Header=BB16_553 Depth=3
	s_or_b64 exec, exec, s[28:29]
	v_add_co_u32_e32 v26, vcc, 2, v26
	v_addc_co_u32_e32 v27, vcc, 0, v27, vcc
.LBB16_579:                             ;   in Loop: Header=BB16_553 Depth=3
	s_or_b64 exec, exec, s[30:31]
	s_and_saveexec_b64 s[28:29], s[10:11]
	s_cbranch_execz .LBB16_598
; %bb.580:                              ;   in Loop: Header=BB16_553 Depth=3
	s_and_saveexec_b64 vcc, s[46:47]
	s_xor_b64 s[30:31], exec, vcc
	s_cbranch_execz .LBB16_595
; %bb.581:                              ;   in Loop: Header=BB16_553 Depth=3
	s_and_saveexec_b64 s[34:35], s[16:17]
	s_cbranch_execz .LBB16_594
; %bb.582:                              ;   in Loop: Header=BB16_553 Depth=3
	s_mov_b64 s[58:59], exec
	v_mbcnt_lo_u32_b32 v0, s58, 0
	v_mbcnt_hi_u32_b32 v0, s59, v0
	v_cmp_eq_u32_e32 vcc, 0, v0
	s_waitcnt vmcnt(0) lgkmcnt(0)
	buffer_wbinvl1_vol
	s_and_saveexec_b64 s[36:37], vcc
	s_cbranch_execz .LBB16_584
; %bb.583:                              ;   in Loop: Header=BB16_553 Depth=3
	s_bcnt1_i32_b64 vcc_lo, s[58:59]
	v_mov_b32_e32 v20, vcc_lo
	ds_add_u64 v0, v[20:21]
	s_trap 2
.LBB16_584:                             ;   in Loop: Header=BB16_553 Depth=3
	s_or_b64 exec, exec, s[36:37]
	s_trap 2
	ds_read_b64 v[0:1], v0
	v_add_co_u32_e32 v34, vcc, v34, v42
	v_addc_co_u32_e32 v35, vcc, 0, v35, vcc
	s_waitcnt lgkmcnt(0)
	v_cmp_lt_u64_e32 vcc, v[0:1], v[34:35]
	s_and_saveexec_b64 s[36:37], vcc
	s_cbranch_execz .LBB16_593
; %bb.585:                              ;   in Loop: Header=BB16_553 Depth=3
	s_mov_b32 s77, 0
	s_mov_b64 s[58:59], 0
                                        ; implicit-def: $sgpr60_sgpr61
                                        ; implicit-def: $sgpr62_sgpr63
	s_branch .LBB16_587
.LBB16_586:                             ;   in Loop: Header=BB16_587 Depth=4
	s_or_b64 exec, exec, s[66:67]
	s_and_b64 vcc, exec, vcc
	s_or_b64 s[58:59], vcc, s[58:59]
	s_andn2_b64 vcc, s[60:61], exec
	s_and_b64 s[60:61], s[62:63], exec
	s_or_b64 s[60:61], vcc, s[60:61]
	s_andn2_b64 exec, exec, s[58:59]
	s_cbranch_execz .LBB16_591
.LBB16_587:                             ;   Parent Loop BB16_81 Depth=1
                                        ;     Parent Loop BB16_550 Depth=2
                                        ;       Parent Loop BB16_553 Depth=3
                                        ; =>      This Inner Loop Header: Depth=4
	s_add_i32 s77, s77, 1
	s_cmpk_lg_i32 s77, 0x2710
	s_cselect_b64 s[64:65], -1, 0
	s_and_b64 vcc, exec, s[64:65]
                                        ; implicit-def: $sgpr66_sgpr67
	s_cbranch_vccnz .LBB16_589
; %bb.588:                              ;   in Loop: Header=BB16_587 Depth=4
	s_trap 2
	ds_read_b64 v[0:1], v0
	s_andn2_b64 s[64:65], s[64:65], exec
	s_mov_b32 s77, 0
	s_mov_b64 s[66:67], -1
	s_waitcnt lgkmcnt(0)
	flat_load_dword v0, v[0:1] glc
	s_waitcnt vmcnt(0) lgkmcnt(0)
	buffer_invl2
	buffer_wbinvl1_vol
	v_cmp_eq_u32_e32 vcc, 0, v0
	s_and_b64 vcc, vcc, exec
	s_or_b64 s[64:65], s[64:65], vcc
.LBB16_589:                             ;   in Loop: Header=BB16_587 Depth=4
	s_andn2_b64 s[62:63], s[62:63], exec
	s_and_b64 s[66:67], s[66:67], exec
	s_mov_b64 vcc, -1
	s_or_b64 s[62:63], s[62:63], s[66:67]
	s_and_saveexec_b64 s[66:67], s[64:65]
	s_cbranch_execz .LBB16_586
; %bb.590:                              ;   in Loop: Header=BB16_587 Depth=4
	s_sleep 1
	s_trap 2
	ds_read_b64 v[0:1], v0
	s_andn2_b64 s[62:63], s[62:63], exec
	s_waitcnt lgkmcnt(0)
	v_cmp_ge_u64_e32 vcc, v[0:1], v[34:35]
	s_orn2_b64 vcc, vcc, exec
	s_branch .LBB16_586
.LBB16_591:                             ;   in Loop: Header=BB16_553 Depth=3
	s_or_b64 exec, exec, s[58:59]
	s_and_saveexec_b64 vcc, s[60:61]
	s_xor_b64 vcc, exec, vcc
	s_cbranch_execz .LBB16_593
; %bb.592:                              ;   in Loop: Header=BB16_553 Depth=3
	ds_write_b32 v0, v53
	s_trap 2
.LBB16_593:                             ;   in Loop: Header=BB16_553 Depth=3
	s_or_b64 exec, exec, s[36:37]
	;;#ASMSTART
	s_wakeup
	;;#ASMEND
.LBB16_594:                             ;   in Loop: Header=BB16_553 Depth=3
	s_or_b64 exec, exec, s[34:35]
.LBB16_595:                             ;   in Loop: Header=BB16_553 Depth=3
	s_andn2_saveexec_b64 vcc, s[30:31]
	s_cbranch_execz .LBB16_597
; %bb.596:                              ;   in Loop: Header=BB16_553 Depth=3
	s_waitcnt vmcnt(0) lgkmcnt(0)
	buffer_wbinvl1_vol
	s_barrier
.LBB16_597:                             ;   in Loop: Header=BB16_553 Depth=3
	s_or_b64 exec, exec, vcc
.LBB16_598:                             ;   in Loop: Header=BB16_553 Depth=3
	s_or_b64 exec, exec, s[28:29]
	s_trap 2
	ds_read_b32 v0, v0
	v_and_b32_e32 v1, 0x4000, v62
	v_cmp_ne_u32_e32 vcc, 0, v1
	s_xor_b64 s[28:29], s[6:7], -1
	s_and_b64 vcc, s[28:29], vcc
	s_and_saveexec_b64 s[28:29], vcc
	s_cbranch_execz .LBB16_617
; %bb.599:                              ;   in Loop: Header=BB16_553 Depth=3
	s_and_saveexec_b64 vcc, s[46:47]
	s_xor_b64 s[30:31], exec, vcc
	s_cbranch_execz .LBB16_614
; %bb.600:                              ;   in Loop: Header=BB16_553 Depth=3
	s_and_saveexec_b64 s[34:35], s[16:17]
	s_cbranch_execz .LBB16_613
; %bb.601:                              ;   in Loop: Header=BB16_553 Depth=3
	s_mov_b64 s[58:59], exec
	v_mbcnt_lo_u32_b32 v1, s58, 0
	v_mbcnt_hi_u32_b32 v1, s59, v1
	v_cmp_eq_u32_e32 vcc, 0, v1
	s_waitcnt vmcnt(0) lgkmcnt(0)
	buffer_wbinvl1_vol
	s_and_saveexec_b64 s[36:37], vcc
	s_cbranch_execz .LBB16_603
; %bb.602:                              ;   in Loop: Header=BB16_553 Depth=3
	s_bcnt1_i32_b64 vcc_lo, s[58:59]
	v_mov_b32_e32 v20, vcc_lo
	ds_add_u64 v0, v[20:21]
	s_trap 2
.LBB16_603:                             ;   in Loop: Header=BB16_553 Depth=3
	s_or_b64 exec, exec, s[36:37]
	s_trap 2
	ds_read_b64 v[2:3], v0
	v_add_co_u32_e32 v34, vcc, v34, v42
	v_addc_co_u32_e32 v35, vcc, 0, v35, vcc
	s_waitcnt lgkmcnt(0)
	v_cmp_lt_u64_e32 vcc, v[2:3], v[34:35]
	s_and_saveexec_b64 s[36:37], vcc
	s_cbranch_execz .LBB16_612
; %bb.604:                              ;   in Loop: Header=BB16_553 Depth=3
	s_mov_b32 s77, 0
	s_mov_b64 s[58:59], 0
                                        ; implicit-def: $sgpr60_sgpr61
                                        ; implicit-def: $sgpr62_sgpr63
	s_branch .LBB16_606
.LBB16_605:                             ;   in Loop: Header=BB16_606 Depth=4
	s_or_b64 exec, exec, s[66:67]
	s_and_b64 vcc, exec, vcc
	s_or_b64 s[58:59], vcc, s[58:59]
	s_andn2_b64 vcc, s[60:61], exec
	s_and_b64 s[60:61], s[62:63], exec
	s_or_b64 s[60:61], vcc, s[60:61]
	s_andn2_b64 exec, exec, s[58:59]
	s_cbranch_execz .LBB16_610
.LBB16_606:                             ;   Parent Loop BB16_81 Depth=1
                                        ;     Parent Loop BB16_550 Depth=2
                                        ;       Parent Loop BB16_553 Depth=3
                                        ; =>      This Inner Loop Header: Depth=4
	s_add_i32 s77, s77, 1
	s_cmpk_lg_i32 s77, 0x2710
	s_cselect_b64 s[64:65], -1, 0
	s_and_b64 vcc, exec, s[64:65]
                                        ; implicit-def: $sgpr66_sgpr67
	s_cbranch_vccnz .LBB16_608
; %bb.607:                              ;   in Loop: Header=BB16_606 Depth=4
	s_trap 2
	ds_read_b64 v[2:3], v0
	s_andn2_b64 s[64:65], s[64:65], exec
	s_mov_b32 s77, 0
	s_mov_b64 s[66:67], -1
	s_waitcnt lgkmcnt(0)
	flat_load_dword v1, v[2:3] glc
	s_waitcnt vmcnt(0) lgkmcnt(0)
	buffer_invl2
	buffer_wbinvl1_vol
	v_cmp_eq_u32_e32 vcc, 0, v1
	s_and_b64 vcc, vcc, exec
	s_or_b64 s[64:65], s[64:65], vcc
.LBB16_608:                             ;   in Loop: Header=BB16_606 Depth=4
	s_andn2_b64 s[62:63], s[62:63], exec
	s_and_b64 s[66:67], s[66:67], exec
	s_mov_b64 vcc, -1
	s_or_b64 s[62:63], s[62:63], s[66:67]
	s_and_saveexec_b64 s[66:67], s[64:65]
	s_cbranch_execz .LBB16_605
; %bb.609:                              ;   in Loop: Header=BB16_606 Depth=4
	s_sleep 1
	s_trap 2
	ds_read_b64 v[2:3], v0
	s_andn2_b64 s[62:63], s[62:63], exec
	s_waitcnt lgkmcnt(0)
	v_cmp_ge_u64_e32 vcc, v[2:3], v[34:35]
	s_orn2_b64 vcc, vcc, exec
	s_branch .LBB16_605
.LBB16_610:                             ;   in Loop: Header=BB16_553 Depth=3
	s_or_b64 exec, exec, s[58:59]
	s_and_saveexec_b64 vcc, s[60:61]
	s_xor_b64 vcc, exec, vcc
	s_cbranch_execz .LBB16_612
; %bb.611:                              ;   in Loop: Header=BB16_553 Depth=3
	ds_write_b32 v0, v53
	s_trap 2
.LBB16_612:                             ;   in Loop: Header=BB16_553 Depth=3
	s_or_b64 exec, exec, s[36:37]
	;;#ASMSTART
	s_wakeup
	;;#ASMEND
.LBB16_613:                             ;   in Loop: Header=BB16_553 Depth=3
	s_or_b64 exec, exec, s[34:35]
.LBB16_614:                             ;   in Loop: Header=BB16_553 Depth=3
	s_andn2_saveexec_b64 vcc, s[30:31]
	s_cbranch_execz .LBB16_616
; %bb.615:                              ;   in Loop: Header=BB16_553 Depth=3
	s_waitcnt vmcnt(0) lgkmcnt(0)
	buffer_wbinvl1_vol
	s_barrier
.LBB16_616:                             ;   in Loop: Header=BB16_553 Depth=3
	s_or_b64 exec, exec, vcc
.LBB16_617:                             ;   in Loop: Header=BB16_553 Depth=3
	s_or_b64 exec, exec, s[28:29]
	s_trap 2
	s_waitcnt lgkmcnt(0)
	ds_read_b64 v[2:3], v0
	v_mov_b32_e32 v59, 0
	s_waitcnt lgkmcnt(0)
	v_readfirstlane_b32 s28, v2
	v_readfirstlane_b32 s29, v3
	s_cmp_eq_u64 s[28:29], 0
	s_cselect_b64 s[28:29], -1, 0
	s_or_b64 s[28:29], s[28:29], s[28:29]
	s_and_b64 vcc, exec, s[28:29]
	s_cbranch_vccnz .LBB16_626
; %bb.618:                              ;   in Loop: Header=BB16_553 Depth=3
	s_trap 2
	ds_read_b64 v[2:3], v0
	v_cmp_eq_u32_e64 s[28:29], 0, v0
	v_cndmask_b32_e64 v59, 0, v58, s[28:29]
	s_waitcnt lgkmcnt(0)
	v_cmp_ne_u64_e32 vcc, 0, v[2:3]
	s_cbranch_vccz .LBB16_638
; %bb.619:                              ;   in Loop: Header=BB16_553 Depth=3
	s_mov_b64 s[30:31], -1
	s_and_saveexec_b64 s[28:29], s[22:23]
	s_cbranch_execz .LBB16_621
; %bb.620:                              ;   in Loop: Header=BB16_553 Depth=3
	ds_read_b32 v0, v0 offset:720
	s_waitcnt lgkmcnt(0)
	v_and_b32_e32 v0, 15, v0
	v_cmp_eq_u32_e32 vcc, 0, v0
	s_orn2_b64 s[30:31], vcc, exec
.LBB16_621:                             ;   in Loop: Header=BB16_553 Depth=3
	s_or_b64 exec, exec, s[28:29]
	s_and_saveexec_b64 s[28:29], s[20:21]
	s_cbranch_execz .LBB16_623
; %bb.622:                              ;   in Loop: Header=BB16_553 Depth=3
	ds_read_b32 v0, v0 offset:784
	s_waitcnt lgkmcnt(0)
	v_and_b32_e32 v0, 15, v0
	v_cmp_eq_u32_e32 vcc, 0, v0
	s_and_b64 vcc, s[30:31], vcc
	s_andn2_b64 s[30:31], s[30:31], exec
	s_and_b64 vcc, vcc, exec
	s_or_b64 s[30:31], s[30:31], vcc
.LBB16_623:                             ;   in Loop: Header=BB16_553 Depth=3
	s_or_b64 exec, exec, s[28:29]
	s_xor_b64 vcc, s[30:31], -1
	v_cndmask_b32_e64 v0, 0, 1, vcc
	s_mov_b64 s[28:29], -1
	;;#ASMSTART
	;;#ASMEND
	v_cmp_ne_u32_e32 vcc, 0, v0
	v_mov_b32_e32 v22, 0
	v_mov_b32_e32 v23, v59
	;; [unrolled: 1-line block ×4, first 2 shown]
	s_cbranch_vccz .LBB16_639
; %bb.624:                              ;   in Loop: Header=BB16_553 Depth=3
	s_and_saveexec_b64 s[34:35], s[28:29]
	s_cbranch_execnz .LBB16_654
.LBB16_625:                             ;   in Loop: Header=BB16_553 Depth=3
	s_or_b64 exec, exec, s[34:35]
.LBB16_626:                             ;   in Loop: Header=BB16_553 Depth=3
	s_and_saveexec_b64 s[28:29], s[10:11]
	s_cbranch_execz .LBB16_672
.LBB16_627:                             ;   in Loop: Header=BB16_553 Depth=3
	s_and_saveexec_b64 vcc, s[46:47]
	s_xor_b64 s[30:31], exec, vcc
	s_cbranch_execz .LBB16_702
; %bb.628:                              ;   in Loop: Header=BB16_553 Depth=3
	s_and_saveexec_b64 s[34:35], s[16:17]
	s_cbranch_execz .LBB16_701
; %bb.629:                              ;   in Loop: Header=BB16_553 Depth=3
	s_mov_b64 s[58:59], exec
	v_mbcnt_lo_u32_b32 v0, s58, 0
	v_mbcnt_hi_u32_b32 v0, s59, v0
	v_cmp_eq_u32_e32 vcc, 0, v0
	s_waitcnt vmcnt(0) lgkmcnt(0)
	buffer_wbinvl1_vol
	s_and_saveexec_b64 s[36:37], vcc
	s_cbranch_execz .LBB16_631
; %bb.630:                              ;   in Loop: Header=BB16_553 Depth=3
	s_bcnt1_i32_b64 vcc_lo, s[58:59]
	v_mov_b32_e32 v20, vcc_lo
	ds_add_u64 v0, v[20:21]
	s_trap 2
.LBB16_631:                             ;   in Loop: Header=BB16_553 Depth=3
	s_or_b64 exec, exec, s[36:37]
	s_trap 2
	ds_read_b64 v[0:1], v0
	v_add_co_u32_e32 v34, vcc, v34, v42
	v_addc_co_u32_e32 v35, vcc, 0, v35, vcc
	s_waitcnt lgkmcnt(0)
	v_cmp_lt_u64_e32 vcc, v[0:1], v[34:35]
	s_and_saveexec_b64 s[36:37], vcc
	s_cbranch_execz .LBB16_700
; %bb.632:                              ;   in Loop: Header=BB16_553 Depth=3
	s_mov_b32 s77, 0
	s_mov_b64 s[58:59], 0
                                        ; implicit-def: $sgpr60_sgpr61
                                        ; implicit-def: $sgpr62_sgpr63
	s_branch .LBB16_634
.LBB16_633:                             ;   in Loop: Header=BB16_634 Depth=4
	s_or_b64 exec, exec, s[66:67]
	s_and_b64 vcc, exec, vcc
	s_or_b64 s[58:59], vcc, s[58:59]
	s_andn2_b64 vcc, s[60:61], exec
	s_and_b64 s[60:61], s[62:63], exec
	s_or_b64 s[60:61], vcc, s[60:61]
	s_andn2_b64 exec, exec, s[58:59]
	s_cbranch_execz .LBB16_698
.LBB16_634:                             ;   Parent Loop BB16_81 Depth=1
                                        ;     Parent Loop BB16_550 Depth=2
                                        ;       Parent Loop BB16_553 Depth=3
                                        ; =>      This Inner Loop Header: Depth=4
	s_add_i32 s77, s77, 1
	s_cmpk_lg_i32 s77, 0x2710
	s_cselect_b64 s[64:65], -1, 0
	s_and_b64 vcc, exec, s[64:65]
                                        ; implicit-def: $sgpr66_sgpr67
	s_cbranch_vccnz .LBB16_636
; %bb.635:                              ;   in Loop: Header=BB16_634 Depth=4
	s_trap 2
	ds_read_b64 v[0:1], v0
	s_andn2_b64 s[64:65], s[64:65], exec
	s_mov_b32 s77, 0
	s_mov_b64 s[66:67], -1
	s_waitcnt lgkmcnt(0)
	flat_load_dword v0, v[0:1] glc
	s_waitcnt vmcnt(0) lgkmcnt(0)
	buffer_invl2
	buffer_wbinvl1_vol
	v_cmp_eq_u32_e32 vcc, 0, v0
	s_and_b64 vcc, vcc, exec
	s_or_b64 s[64:65], s[64:65], vcc
.LBB16_636:                             ;   in Loop: Header=BB16_634 Depth=4
	s_andn2_b64 s[62:63], s[62:63], exec
	s_and_b64 s[66:67], s[66:67], exec
	s_mov_b64 vcc, -1
	s_or_b64 s[62:63], s[62:63], s[66:67]
	s_and_saveexec_b64 s[66:67], s[64:65]
	s_cbranch_execz .LBB16_633
; %bb.637:                              ;   in Loop: Header=BB16_634 Depth=4
	s_sleep 1
	s_trap 2
	ds_read_b64 v[0:1], v0
	s_andn2_b64 s[62:63], s[62:63], exec
	s_waitcnt lgkmcnt(0)
	v_cmp_ge_u64_e32 vcc, v[0:1], v[34:35]
	s_orn2_b64 vcc, vcc, exec
	s_branch .LBB16_633
.LBB16_638:                             ;   in Loop: Header=BB16_553 Depth=3
	s_cbranch_execnz .LBB16_665
	s_branch .LBB16_626
.LBB16_639:                             ;   in Loop: Header=BB16_553 Depth=3
	v_ashrrev_i32_e32 v0, 31, v59
	v_lshrrev_b32_e32 v0, 20, v0
	v_add_u32_e32 v0, v59, v0
	v_ashrrev_i32_e32 v0, 12, v0
	v_sub_u32_e32 v1, v0, v43
	v_cmp_lt_i32_e32 vcc, 0, v1
	s_and_saveexec_b64 s[28:29], vcc
	s_cbranch_execz .LBB16_643
; %bb.640:                              ;   in Loop: Header=BB16_553 Depth=3
	s_trap 2
	ds_read_b64 v[2:3], v0
	ds_read_b128 v[10:13], v0
	v_accvgpr_read_b32 v7, a49
	s_mov_b64 s[30:31], 0
	s_waitcnt vmcnt(0) lgkmcnt(0)
	v_add_co_u32_e32 v2, vcc, v2, v16
	v_addc_co_u32_e32 v3, vcc, v3, v7, vcc
	v_add_co_u32_e32 v4, vcc, v10, v16
	v_addc_co_u32_e32 v5, vcc, v11, v7, vcc
	;; [unrolled: 2-line block ×3, first 2 shown]
.LBB16_641:                             ;   Parent Loop BB16_81 Depth=1
                                        ;     Parent Loop BB16_550 Depth=2
                                        ;       Parent Loop BB16_553 Depth=3
                                        ; =>      This Inner Loop Header: Depth=4
	global_load_dwordx4 v[10:13], v[2:3], off glc slc
	global_load_dwordx4 v[16:19], v[2:3], off offset:1024 glc slc
	global_load_dwordx4 v[22:25], v[2:3], off offset:2048 glc slc
	;; [unrolled: 1-line block ×3, first 2 shown]
	v_add_co_u32_e32 v2, vcc, v2, v52
	v_addc_co_u32_e32 v3, vcc, v3, v50, vcc
	v_sub_u32_e32 v1, v1, v42
	v_cmp_gt_i32_e32 vcc, 1, v1
	s_or_b64 s[30:31], vcc, s[30:31]
	s_waitcnt vmcnt(0)
	global_store_dwordx4 v[4:5], v[10:13], off glc slc
	global_store_dwordx4 v[4:5], v[16:19], off offset:1024 glc slc
	global_store_dwordx4 v[4:5], v[22:25], off offset:2048 glc slc
	;; [unrolled: 1-line block ×3, first 2 shown]
	global_store_dwordx4 v[14:15], v[10:13], off glc slc
	global_store_dwordx4 v[14:15], v[16:19], off offset:1024 glc slc
	global_store_dwordx4 v[14:15], v[22:25], off offset:2048 glc slc
	;; [unrolled: 1-line block ×3, first 2 shown]
	v_add_co_u32_e32 v4, vcc, v4, v52
	v_addc_co_u32_e32 v5, vcc, v5, v50, vcc
	v_add_co_u32_e32 v14, vcc, v14, v52
	v_addc_co_u32_e32 v15, vcc, v15, v50, vcc
	s_andn2_b64 exec, exec, s[30:31]
	s_cbranch_execnz .LBB16_641
; %bb.642:                              ;   in Loop: Header=BB16_553 Depth=3
	s_or_b64 exec, exec, s[30:31]
	buffer_load_dword v16, off, s[0:3], s33 offset:152 ; 4-byte Folded Reload
	buffer_load_dword v17, off, s[0:3], s33 offset:156 ; 4-byte Folded Reload
	v_accvgpr_read_b32 v24, a36
	v_accvgpr_read_b32 v30, a38
	;; [unrolled: 1-line block ×7, first 2 shown]
.LBB16_643:                             ;   in Loop: Header=BB16_553 Depth=3
	s_or_b64 exec, exec, s[28:29]
	v_lshlrev_b32_e32 v0, 12, v0
	v_cmp_ne_u32_e32 vcc, v59, v0
	s_mov_b64 s[28:29], 0
	v_mov_b32_e32 v22, 0
                                        ; implicit-def: $vgpr23
                                        ; implicit-def: $vgpr48
                                        ; implicit-def: $vgpr2
	s_and_saveexec_b64 s[58:59], vcc
	s_cbranch_execz .LBB16_653
; %bb.644:                              ;   in Loop: Header=BB16_553 Depth=3
	v_lshlrev_b32_e32 v1, 6, v1
	v_accvgpr_read_b32 v2, a43
	v_sub_u32_e32 v1, v2, v1
	v_sub_u32_e32 v3, v59, v0
	v_ashrrev_i32_e32 v2, 31, v1
	v_lshrrev_b32_e32 v2, 26, v2
	v_ashrrev_i32_e32 v5, 31, v3
	v_add_u32_e32 v2, v1, v2
	v_lshrrev_b32_e32 v5, 22, v5
	v_ashrrev_i32_e32 v4, 6, v2
	v_and_b32_e32 v2, 0xffffffc0, v2
	v_add_u32_e32 v5, v3, v5
	v_sub_u32_e32 v1, v1, v2
	v_and_b32_e32 v12, 0xfffffc00, v5
	v_lshlrev_b32_e32 v2, 4, v1
	v_sub_u32_e32 v13, v3, v12
	v_lshl_add_u32 v2, v4, 10, v2
	v_ashrrev_i32_e32 v7, 10, v5
	v_cmp_lt_i32_e64 s[28:29], 15, v13
	v_sub_u32_e32 v18, v3, v2
	v_addc_co_u32_e64 v3, vcc, 0, v7, s[28:29]
	v_sub_u32_e32 v7, v3, v4
	v_cmp_lt_i32_e32 vcc, 15, v18
	s_and_saveexec_b64 s[60:61], vcc
	s_cbranch_execz .LBB16_650
; %bb.645:                              ;   in Loop: Header=BB16_553 Depth=3
	s_trap 2
	ds_read_b64 v[10:11], v0
	v_add_u32_e32 v14, v2, v0
	ds_read_b128 v[2:5], v0
	v_ashrrev_i32_e32 v15, 31, v14
	s_mov_b64 s[62:63], 0
	s_waitcnt lgkmcnt(0)
	v_add_co_u32_e32 v22, vcc, v10, v14
	v_addc_co_u32_e32 v23, vcc, v11, v15, vcc
	v_add_co_u32_e32 v2, vcc, v2, v14
	v_addc_co_u32_e32 v3, vcc, v3, v15, vcc
	v_add_co_u32_e32 v4, vcc, v4, v14
	v_addc_co_u32_e32 v5, vcc, v5, v15, vcc
.LBB16_646:                             ;   Parent Loop BB16_81 Depth=1
                                        ;     Parent Loop BB16_550 Depth=2
                                        ;       Parent Loop BB16_553 Depth=3
                                        ; =>      This Loop Header: Depth=4
                                        ;           Child Loop BB16_647 Depth 5
	global_load_dwordx4 v[14:17], v[22:23], off glc slc
	s_mov_b64 s[66:67], -1
	s_mov_b64 s[64:65], 0
	s_waitcnt vmcnt(0)
.LBB16_647:                             ;   Parent Loop BB16_81 Depth=1
                                        ;     Parent Loop BB16_550 Depth=2
                                        ;       Parent Loop BB16_553 Depth=3
                                        ;         Parent Loop BB16_646 Depth=4
                                        ; =>        This Inner Loop Header: Depth=5
	s_cmp_eq_u32 s64, 0
	s_cselect_b64 s[30:31], -1, 0
	s_cmp_eq_u32 s64, 1
	v_cndmask_b32_e64 v10, 0, 1, s[66:67]
	s_cselect_b64 s[36:37], -1, 0
	v_cmp_ne_u32_e64 s[34:35], 1, v10
	v_cndmask_b32_e64 v11, v3, v5, s[36:37]
	v_cndmask_b32_e64 v10, v2, v4, s[36:37]
	global_store_dwordx4 v[10:11], v[14:17], off glc slc
	v_add_co_u32_e32 v10, vcc, 0x400, v10
	v_addc_co_u32_e32 v11, vcc, 0, v11, vcc
	s_mov_b64 s[66:67], 0
	s_mov_b64 s[64:65], 1
	v_cndmask_b32_e64 v4, v4, v10, s[36:37]
	s_and_b64 vcc, exec, s[34:35]
	v_cndmask_b32_e64 v5, v5, v11, s[36:37]
	v_cndmask_b32_e64 v3, v3, v11, s[30:31]
	;; [unrolled: 1-line block ×3, first 2 shown]
	s_cbranch_vccz .LBB16_647
; %bb.648:                              ;   in Loop: Header=BB16_646 Depth=4
	v_add_co_u32_e32 v2, vcc, v2, v30
	v_addc_co_u32_e32 v3, vcc, v3, v31, vcc
	v_add_co_u32_e32 v4, vcc, v4, v30
	v_addc_co_u32_e32 v5, vcc, v5, v31, vcc
	;; [unrolled: 2-line block ×3, first 2 shown]
	v_sub_u32_e32 v18, v18, v55
	v_cmp_gt_i32_e32 vcc, 16, v18
	s_or_b64 s[62:63], vcc, s[62:63]
	v_sub_u32_e32 v7, v7, v42
	s_andn2_b64 exec, exec, s[62:63]
	s_cbranch_execnz .LBB16_646
; %bb.649:                              ;   in Loop: Header=BB16_553 Depth=3
	s_or_b64 exec, exec, s[62:63]
	buffer_load_dword v16, off, s[0:3], s33 offset:152 ; 4-byte Folded Reload
	buffer_load_dword v17, off, s[0:3], s33 offset:156 ; 4-byte Folded Reload
.LBB16_650:                             ;   in Loop: Header=BB16_553 Depth=3
	s_or_b64 exec, exec, s[60:61]
	v_and_b32_e32 v3, 15, v59
	v_cndmask_b32_e64 v23, v13, v3, s[28:29]
	v_cmp_ne_u32_e32 vcc, 0, v23
	s_mov_b64 s[30:31], 0
	v_mov_b32_e32 v22, 0
                                        ; implicit-def: $vgpr48
                                        ; implicit-def: $vgpr2
	s_and_saveexec_b64 s[34:35], vcc
	s_cbranch_execz .LBB16_652
; %bb.651:                              ;   in Loop: Header=BB16_553 Depth=3
	v_sub_u32_e32 v2, v13, v3
	v_cndmask_b32_e64 v2, 0, v2, s[28:29]
	v_cmp_lt_i32_e32 vcc, 0, v7
	v_add3_u32 v22, v12, v0, v2
	v_cndmask_b32_e32 v0, 0, v42, vcc
	v_sub_u32_e32 v0, v0, v7
	v_lshl_add_u32 v48, v0, 6, v1
	v_ashrrev_i32_e32 v0, 31, v48
	v_lshrrev_b32_e32 v0, 26, v0
	v_add_u32_e32 v0, v48, v0
	s_mov_b64 s[30:31], exec
	v_ashrrev_i32_e32 v2, 6, v0
.LBB16_652:                             ;   in Loop: Header=BB16_553 Depth=3
	s_or_b64 exec, exec, s[34:35]
	s_and_b64 s[28:29], s[30:31], exec
	v_accvgpr_read_b32 v13, a48
.LBB16_653:                             ;   in Loop: Header=BB16_553 Depth=3
	s_or_b64 exec, exec, s[58:59]
	s_and_saveexec_b64 s[34:35], s[28:29]
	s_cbranch_execz .LBB16_625
.LBB16_654:                             ;   in Loop: Header=BB16_553 Depth=3
	v_ashrrev_i32_e32 v0, 31, v23
	v_lshrrev_b32_e32 v0, 21, v0
	v_add_u32_e32 v0, v23, v0
	v_ashrrev_i32_e32 v19, 11, v0
	v_sub_u32_e32 v18, v19, v2
	v_ashrrev_i32_e32 v0, 31, v48
	v_cmp_lt_i32_e32 vcc, 0, v18
	v_lshrrev_b32_e32 v37, 26, v0
	s_and_saveexec_b64 s[28:29], vcc
	s_cbranch_execz .LBB16_658
; %bb.655:                              ;   in Loop: Header=BB16_553 Depth=3
	v_add_u32_e32 v0, v48, v37
	v_and_b32_e32 v0, 0xffffffc0, v0
	s_trap 2
	v_sub_u32_e32 v3, v48, v0
	ds_read_b64 v[0:1], v0
	v_lshlrev_b32_e32 v2, 11, v2
	v_add3_u32 v7, v22, v3, v2
	v_ashrrev_i32_e32 v15, 31, v7
	v_accvgpr_write_b32 a30, v34
	s_waitcnt lgkmcnt(0)
	ds_read_b128 v[10:13], v0
	v_accvgpr_write_b32 a31, v35
	v_accvgpr_write_b32 a23, v21
	s_mov_b64 s[30:31], 0
	v_mov_b32_e32 v36, v42
	s_waitcnt lgkmcnt(0)
	v_add_co_u32_e32 v2, vcc, v10, v7
	v_addc_co_u32_e32 v3, vcc, v11, v15, vcc
	v_add_co_u32_e32 v4, vcc, v12, v7
	v_addc_co_u32_e32 v5, vcc, v13, v15, vcc
	;; [unrolled: 2-line block ×4, first 2 shown]
.LBB16_656:                             ;   Parent Loop BB16_81 Depth=1
                                        ;     Parent Loop BB16_550 Depth=2
                                        ;       Parent Loop BB16_553 Depth=3
                                        ; =>      This Inner Loop Header: Depth=4
	s_waitcnt vmcnt(0)
	v_add_co_u32_e32 v16, vcc, 0xfffff840, v14
	v_addc_co_u32_e32 v17, vcc, -1, v15, vcc
	v_add_co_u32_e32 v0, vcc, 0xfffff880, v14
	v_addc_co_u32_e32 v1, vcc, -1, v15, vcc
	;; [unrolled: 2-line block ×3, first 2 shown]
	flat_load_ubyte v16, v[16:17] glc slc
	v_sub_u32_e32 v18, v18, v36
	flat_load_ubyte v17, v[0:1] glc slc
	v_add_co_u32_e32 v0, vcc, 0xfffff900, v14
	v_addc_co_u32_e32 v1, vcc, -1, v15, vcc
	flat_load_ubyte v47, v[10:11] glc slc
	v_add_co_u32_e32 v10, vcc, 0xfffff940, v14
	v_addc_co_u32_e32 v11, vcc, -1, v15, vcc
	;; [unrolled: 3-line block ×6, first 2 shown]
	v_add_co_u32_e32 v12, vcc, 0xfffffa80, v14
	v_addc_co_u32_e32 v13, vcc, -1, v15, vcc
	flat_load_ubyte v44, v[10:11] glc slc
	v_add_co_u32_e32 v10, vcc, 0xfffffac0, v14
	v_addc_co_u32_e32 v11, vcc, -1, v15, vcc
	flat_load_ubyte v1, v[0:1] glc slc
	s_nop 0
	flat_load_ubyte v0, v[12:13] glc slc
	v_add_co_u32_e32 v12, vcc, 0xfffffb00, v14
	v_addc_co_u32_e32 v13, vcc, -1, v15, vcc
	flat_load_ubyte v45, v[10:11] glc slc
	v_add_co_u32_e32 v10, vcc, 0xfffffb40, v14
	v_addc_co_u32_e32 v11, vcc, -1, v15, vcc
	;; [unrolled: 3-line block ×4, first 2 shown]
	flat_load_ubyte v34, v[12:13] glc slc
	v_add_co_u32_e32 v12, vcc, s72, v14
	flat_load_ubyte v53, v[14:15] glc slc
	v_addc_co_u32_e32 v13, vcc, -1, v15, vcc
	flat_load_ubyte v35, v[10:11] glc slc
	v_add_co_u32_e32 v10, vcc, 0xfffffc40, v14
	v_addc_co_u32_e32 v11, vcc, -1, v15, vcc
	v_add_co_u32_e32 v24, vcc, 0xfffffc80, v14
	v_addc_co_u32_e32 v25, vcc, -1, v15, vcc
	flat_load_ubyte v12, v[12:13] glc slc
	s_nop 0
	flat_load_ubyte v13, v[10:11] glc slc
	v_add_co_u32_e32 v10, vcc, 0xfffffcc0, v14
	v_addc_co_u32_e32 v11, vcc, -1, v15, vcc
	v_add_co_u32_e32 v32, vcc, 0xfffffd00, v14
	v_addc_co_u32_e32 v33, vcc, -1, v15, vcc
	flat_load_ubyte v30, v[24:25] glc slc
	flat_load_ubyte v40, v[32:33] glc slc
	s_nop 0
	flat_load_ubyte v25, v[10:11] glc slc
	v_add_co_u32_e32 v10, vcc, 0xfffffd40, v14
	v_addc_co_u32_e32 v11, vcc, -1, v15, vcc
	v_add_co_u32_e32 v32, vcc, 0xfffffd80, v14
	v_addc_co_u32_e32 v33, vcc, -1, v15, vcc
	flat_load_ubyte v55, v[10:11] glc slc
	v_add_co_u32_e32 v10, vcc, 0xfffffdc0, v14
	v_addc_co_u32_e32 v11, vcc, -1, v15, vcc
	flat_load_ubyte v31, v[32:33] glc slc
	;; [unrolled: 3-line block ×5, first 2 shown]
	v_add_co_u32_e32 v10, vcc, 0xfffffec0, v14
	v_addc_co_u32_e32 v11, vcc, -1, v15, vcc
	v_add_co_u32_e32 v60, vcc, 0xffffff00, v14
	v_addc_co_u32_e32 v61, vcc, -1, v15, vcc
	flat_load_ubyte v43, v[32:33] glc slc
	s_nop 0
	flat_load_ubyte v32, v[10:11] glc slc
	v_add_co_u32_e32 v10, vcc, 0xffffff40, v14
	v_addc_co_u32_e32 v11, vcc, -1, v15, vcc
	flat_load_ubyte v33, v[60:61] glc slc
	v_add_co_u32_e32 v60, vcc, 0xffffff80, v14
	v_addc_co_u32_e32 v61, vcc, -1, v15, vcc
	flat_load_ubyte v49, v[10:11] glc slc
	v_add_co_u32_e32 v20, vcc, s71, v14
	flat_load_ubyte v10, v[60:61] glc slc
	v_addc_co_u32_e32 v21, vcc, -1, v15, vcc
	flat_load_ubyte v11, v[20:21] glc slc
	v_cmp_gt_i32_e32 vcc, 1, v18
	s_or_b64 s[30:31], vcc, s[30:31]
	v_add_co_u32_e32 v14, vcc, v14, v8
	v_addc_co_u32_e32 v15, vcc, v15, v9, vcc
	s_waitcnt vmcnt(0) lgkmcnt(0)
	flat_store_byte v[2:3], v53 offset:1984 glc slc
	flat_store_byte v[2:3], v16 glc slc
	flat_store_byte v[2:3], v17 offset:64 glc slc
	flat_store_byte v[2:3], v47 offset:128 glc slc
	;; [unrolled: 1-line block ×30, first 2 shown]
	flat_store_byte v[4:5], v16 glc slc
	flat_store_byte v[4:5], v17 offset:64 glc slc
	flat_store_byte v[4:5], v47 offset:128 glc slc
	;; [unrolled: 1-line block ×31, first 2 shown]
	v_add_co_u32_e32 v2, vcc, v2, v8
	v_addc_co_u32_e32 v3, vcc, v3, v9, vcc
	v_add_co_u32_e32 v4, vcc, v4, v8
	v_addc_co_u32_e32 v5, vcc, v5, v9, vcc
	s_andn2_b64 exec, exec, s[30:31]
	s_cbranch_execnz .LBB16_656
; %bb.657:                              ;   in Loop: Header=BB16_553 Depth=3
	s_or_b64 exec, exec, s[30:31]
	buffer_load_dword v16, off, s[0:3], s33 offset:152 ; 4-byte Folded Reload
	buffer_load_dword v17, off, s[0:3], s33 offset:156 ; 4-byte Folded Reload
	v_accvgpr_read_b32 v41, a21
	v_accvgpr_read_b32 v45, a25
	;; [unrolled: 1-line block ×11, first 2 shown]
	v_mov_b32_e32 v42, v36
	v_accvgpr_read_b32 v34, a30
	v_accvgpr_read_b32 v51, a28
	v_mov_b32_e32 v53, 1
	v_accvgpr_read_b32 v55, a35
	v_accvgpr_read_b32 v24, a36
	v_accvgpr_read_b32 v30, a38
	v_accvgpr_read_b32 v25, a37
	v_accvgpr_read_b32 v43, a39
	v_accvgpr_read_b32 v31, a41
	v_accvgpr_read_b32 v57, a40
	v_accvgpr_read_b32 v60, a42
	v_accvgpr_read_b32 v32, a44
	v_accvgpr_read_b32 v33, a45
	v_accvgpr_read_b32 v13, a48
.LBB16_658:                             ;   in Loop: Header=BB16_553 Depth=3
	s_or_b64 exec, exec, s[28:29]
	v_lshlrev_b32_e32 v0, 11, v19
	v_cmp_ne_u32_e32 vcc, v23, v0
	s_and_saveexec_b64 s[36:37], vcc
	s_cbranch_execz .LBB16_664
; %bb.659:                              ;   in Loop: Header=BB16_553 Depth=3
	v_add_u32_e32 v1, v48, v37
	v_and_b32_e32 v1, 0xffffffc0, v1
	v_sub_u32_e32 v1, v48, v1
	v_lshlrev_b32_e32 v2, 6, v18
	v_sub_u32_e32 v1, v1, v2
	v_add_u32_e32 v1, v0, v1
	v_sub_u32_e32 v0, v23, v1
	v_cmp_lt_i32_e32 vcc, 0, v0
	s_and_b64 exec, exec, vcc
	s_cbranch_execz .LBB16_664
; %bb.660:                              ;   in Loop: Header=BB16_553 Depth=3
	s_trap 2
	ds_read_b64 v[10:11], v0
	ds_read_b128 v[2:5], v0
	v_add_u32_e32 v1, v1, v22
	v_ashrrev_i32_e32 v7, 31, v1
	s_mov_b64 s[58:59], 0
	s_waitcnt lgkmcnt(0)
	v_add_co_u32_e32 v14, vcc, v10, v1
	v_addc_co_u32_e32 v15, vcc, v11, v7, vcc
	v_add_co_u32_e32 v2, vcc, v2, v1
	v_addc_co_u32_e32 v3, vcc, v3, v7, vcc
	;; [unrolled: 2-line block ×3, first 2 shown]
.LBB16_661:                             ;   Parent Loop BB16_81 Depth=1
                                        ;     Parent Loop BB16_550 Depth=2
                                        ;       Parent Loop BB16_553 Depth=3
                                        ; =>      This Loop Header: Depth=4
                                        ;           Child Loop BB16_662 Depth 5
	flat_load_ubyte v1, v[14:15] glc slc
	s_mov_b64 s[60:61], -1
	s_mov_b64 s[62:63], 0
	s_waitcnt vmcnt(0)
.LBB16_662:                             ;   Parent Loop BB16_81 Depth=1
                                        ;     Parent Loop BB16_550 Depth=2
                                        ;       Parent Loop BB16_553 Depth=3
                                        ;         Parent Loop BB16_661 Depth=4
                                        ; =>        This Inner Loop Header: Depth=5
	s_cmp_eq_u32 s62, 1
	s_cselect_b64 vcc, -1, 0
	v_cndmask_b32_e32 v10, v2, v4, vcc
	v_cndmask_b32_e32 v11, v3, v5, vcc
	v_add_co_u32_e64 v7, s[28:29], 64, v10
	s_cmp_eq_u32 s62, 0
	s_waitcnt lgkmcnt(0)
	flat_store_byte v[10:11], v1 glc slc
	v_addc_co_u32_e64 v10, s[28:29], 0, v11, s[28:29]
	s_cselect_b64 s[28:29], -1, 0
	s_and_b64 s[30:31], exec, s[60:61]
	s_mov_b64 s[62:63], 1
	s_mov_b64 s[60:61], 0
	v_cndmask_b32_e32 v5, v5, v10, vcc
	v_cndmask_b32_e32 v4, v4, v7, vcc
	v_cndmask_b32_e64 v3, v3, v10, s[28:29]
	v_cndmask_b32_e64 v2, v2, v7, s[28:29]
	s_mov_b64 vcc, s[30:31]
	s_cbranch_vccnz .LBB16_662
; %bb.663:                              ;   in Loop: Header=BB16_661 Depth=4
	v_add_co_u32_e32 v2, vcc, v2, v24
	v_addc_co_u32_e32 v3, vcc, v3, v25, vcc
	v_add_co_u32_e32 v4, vcc, v4, v24
	v_addc_co_u32_e32 v5, vcc, v5, v25, vcc
	v_sub_u32_e32 v0, v0, v51
	v_cmp_gt_i32_e32 vcc, 1, v0
	s_or_b64 s[58:59], vcc, s[58:59]
	v_add_co_u32_e32 v14, vcc, v57, v14
	v_addc_co_u32_e32 v15, vcc, v60, v15, vcc
	s_andn2_b64 exec, exec, s[58:59]
	s_cbranch_execnz .LBB16_661
.LBB16_664:                             ;   in Loop: Header=BB16_553 Depth=3
	s_or_b64 exec, exec, s[36:37]
	s_or_b64 exec, exec, s[34:35]
	s_branch .LBB16_626
.LBB16_665:                             ;   in Loop: Header=BB16_553 Depth=3
	s_mov_b64 s[28:29], -1
	s_and_saveexec_b64 s[30:31], s[22:23]
	s_cbranch_execz .LBB16_667
; %bb.666:                              ;   in Loop: Header=BB16_553 Depth=3
	ds_read_b32 v0, v0 offset:720
	s_waitcnt lgkmcnt(0)
	v_and_b32_e32 v0, 15, v0
	v_cmp_eq_u32_e32 vcc, 0, v0
	s_orn2_b64 s[28:29], vcc, exec
.LBB16_667:                             ;   in Loop: Header=BB16_553 Depth=3
	s_or_b64 exec, exec, s[30:31]
	s_and_saveexec_b64 s[30:31], s[18:19]
	s_cbranch_execz .LBB16_669
; %bb.668:                              ;   in Loop: Header=BB16_553 Depth=3
	ds_read_b32 v0, v0 offset:784
	s_waitcnt lgkmcnt(0)
	v_and_b32_e32 v0, 15, v0
	v_cmp_eq_u32_e32 vcc, 0, v0
	s_and_b64 vcc, s[28:29], vcc
	s_andn2_b64 s[28:29], s[28:29], exec
	s_and_b64 vcc, vcc, exec
	s_or_b64 s[28:29], s[28:29], vcc
.LBB16_669:                             ;   in Loop: Header=BB16_553 Depth=3
	s_or_b64 exec, exec, s[30:31]
	s_xor_b64 s[28:29], s[28:29], -1
	v_cndmask_b32_e64 v0, 0, 1, s[28:29]
	s_mov_b64 s[34:35], -1
	;;#ASMSTART
	;;#ASMEND
	v_cmp_ne_u32_e32 vcc, 0, v0
	v_mov_b32_e32 v18, 0
	v_mov_b32_e32 v19, v59
	v_mov_b32_e32 v22, v61
	v_mov_b32_e32 v4, v43
	s_cbranch_vccz .LBB16_676
; %bb.670:                              ;   in Loop: Header=BB16_553 Depth=3
	s_and_saveexec_b64 s[28:29], s[34:35]
	s_cbranch_execnz .LBB16_689
.LBB16_671:                             ;   in Loop: Header=BB16_553 Depth=3
	s_or_b64 exec, exec, s[28:29]
	s_and_saveexec_b64 s[28:29], s[10:11]
	s_cbranch_execnz .LBB16_627
.LBB16_672:                             ;   in Loop: Header=BB16_553 Depth=3
	s_or_b64 exec, exec, s[28:29]
                                        ; implicit-def: $vgpr0
	s_and_saveexec_b64 s[28:29], s[24:25]
	s_xor_b64 s[30:31], exec, s[28:29]
	s_cbranch_execz .LBB16_705
.LBB16_673:                             ;   in Loop: Header=BB16_553 Depth=3
	v_and_b32_e32 v1, 16, v62
	v_cmp_lt_i32_e32 vcc, 0, v59
	v_cmp_ne_u32_e64 s[28:29], 0, v1
	v_and_b32_e32 v0, 16, v62
	s_and_b64 vcc, s[28:29], vcc
	s_and_saveexec_b64 s[28:29], vcc
	s_cbranch_execz .LBB16_675
; %bb.674:                              ;   in Loop: Header=BB16_553 Depth=3
	v_mov_b32_e32 v0, 1
	s_waitcnt vmcnt(0) lgkmcnt(0)
	buffer_wbinvl1_vol
.LBB16_675:                             ;   in Loop: Header=BB16_553 Depth=3
	s_or_b64 exec, exec, s[28:29]
	s_andn2_saveexec_b64 s[28:29], s[30:31]
	s_cbranch_execz .LBB16_724
	s_branch .LBB16_706
.LBB16_676:                             ;   in Loop: Header=BB16_553 Depth=3
	v_ashrrev_i32_e32 v0, 31, v59
	v_lshrrev_b32_e32 v0, 20, v0
	v_add_u32_e32 v0, v59, v0
	v_ashrrev_i32_e32 v0, 12, v0
	v_sub_u32_e32 v1, v0, v43
	v_cmp_lt_i32_e32 vcc, 0, v1
	s_and_saveexec_b64 s[28:29], vcc
	s_cbranch_execz .LBB16_680
; %bb.677:                              ;   in Loop: Header=BB16_553 Depth=3
	s_trap 2
	ds_read_b64 v[2:3], v0
	s_mov_b64 s[30:31], 0
	v_accvgpr_read_b32 v7, a49
	s_waitcnt lgkmcnt(0)
	v_pk_mov_b32 v[4:5], v[2:3], v[2:3] op_sel:[0,1]
.LBB16_678:                             ;   Parent Loop BB16_81 Depth=1
                                        ;     Parent Loop BB16_550 Depth=2
                                        ;       Parent Loop BB16_553 Depth=3
                                        ; =>      This Inner Loop Header: Depth=4
	s_waitcnt vmcnt(0)
	v_add_co_u32_e32 v18, vcc, v16, v4
	v_addc_co_u32_e32 v19, vcc, v7, v5, vcc
	global_load_dwordx4 v[10:13], v[18:19], off glc slc
	global_load_dwordx4 v[14:17], v[18:19], off offset:1024 glc slc
	global_load_dwordx4 v[22:25], v[18:19], off offset:2048 glc slc
	;; [unrolled: 1-line block ×3, first 2 shown]
	s_nop 0
	buffer_load_dword v18, off, s[0:3], s33 offset:152 ; 4-byte Folded Reload
	buffer_load_dword v19, off, s[0:3], s33 offset:156 ; 4-byte Folded Reload
	v_sub_u32_e32 v1, v1, v42
	s_waitcnt vmcnt(1)
	v_add_co_u32_e32 v18, vcc, v18, v2
	s_waitcnt vmcnt(0)
	v_addc_co_u32_e32 v19, vcc, v7, v3, vcc
	global_store_dwordx4 v[18:19], v[10:13], off glc slc
	global_store_dwordx4 v[18:19], v[14:17], off offset:1024 glc slc
	buffer_load_dword v16, off, s[0:3], s33 offset:152 ; 4-byte Folded Reload
	s_nop 0
	buffer_load_dword v17, off, s[0:3], s33 offset:156 ; 4-byte Folded Reload
	v_add_co_u32_e32 v4, vcc, v4, v52
	v_addc_co_u32_e32 v5, vcc, v5, v50, vcc
	v_add_co_u32_e32 v2, vcc, v2, v52
	v_addc_co_u32_e32 v3, vcc, v3, v50, vcc
	v_cmp_gt_i32_e32 vcc, 1, v1
	s_or_b64 s[30:31], vcc, s[30:31]
	global_store_dwordx4 v[18:19], v[22:25], off offset:2048 glc slc
	global_store_dwordx4 v[18:19], v[30:33], off offset:3072 glc slc
	s_andn2_b64 exec, exec, s[30:31]
	s_cbranch_execnz .LBB16_678
; %bb.679:                              ;   in Loop: Header=BB16_553 Depth=3
	s_or_b64 exec, exec, s[30:31]
	v_accvgpr_read_b32 v24, a36
	v_accvgpr_read_b32 v30, a38
	;; [unrolled: 1-line block ×7, first 2 shown]
.LBB16_680:                             ;   in Loop: Header=BB16_553 Depth=3
	s_or_b64 exec, exec, s[28:29]
	v_lshlrev_b32_e32 v0, 12, v0
	v_cmp_ne_u32_e32 vcc, v59, v0
	s_mov_b64 s[34:35], 0
	v_mov_b32_e32 v18, 0
                                        ; implicit-def: $vgpr19
                                        ; implicit-def: $vgpr22
                                        ; implicit-def: $vgpr4
	s_and_saveexec_b64 s[30:31], vcc
	s_cbranch_execz .LBB16_688
; %bb.681:                              ;   in Loop: Header=BB16_553 Depth=3
	v_lshlrev_b32_e32 v1, 6, v1
	v_accvgpr_read_b32 v3, a43
	v_sub_u32_e32 v1, v3, v1
	v_ashrrev_i32_e32 v3, 31, v1
	v_lshrrev_b32_e32 v3, 26, v3
	v_add_u32_e32 v3, v1, v3
	v_ashrrev_i32_e32 v5, 6, v3
	v_and_b32_e32 v3, 0xffffffc0, v3
	v_sub_u32_e32 v1, v1, v3
	v_sub_u32_e32 v2, v59, v0
	v_lshlrev_b32_e32 v3, 4, v1
	v_lshl_add_u32 v4, v5, 10, v3
	v_ashrrev_i32_e32 v3, 31, v2
	v_lshrrev_b32_e32 v3, 22, v3
	v_add_u32_e32 v3, v2, v3
	v_and_b32_e32 v7, 0xfffffc00, v3
	v_sub_u32_e32 v11, v2, v7
	v_ashrrev_i32_e32 v10, 10, v3
	v_cmp_lt_i32_e32 vcc, 15, v11
	v_sub_u32_e32 v12, v2, v4
	v_addc_co_u32_e64 v2, s[28:29], 0, v10, vcc
	v_sub_u32_e32 v10, v2, v5
	v_cmp_lt_i32_e64 s[28:29], 15, v12
	s_and_saveexec_b64 s[34:35], s[28:29]
	s_cbranch_execz .LBB16_685
; %bb.682:                              ;   in Loop: Header=BB16_553 Depth=3
	s_trap 2
	ds_read_b64 v[2:3], v0
	v_add_u32_e32 v4, v4, v0
	v_ashrrev_i32_e32 v5, 31, v4
	s_mov_b64 s[36:37], 0
.LBB16_683:                             ;   Parent Loop BB16_81 Depth=1
                                        ;     Parent Loop BB16_550 Depth=2
                                        ;       Parent Loop BB16_553 Depth=3
                                        ; =>      This Inner Loop Header: Depth=4
	s_waitcnt lgkmcnt(0)
	v_add_co_u32_e64 v18, s[28:29], v2, v4
	v_addc_co_u32_e64 v19, s[28:29], v3, v5, s[28:29]
	global_load_dwordx4 v[14:17], v[18:19], off glc slc
	v_add_co_u32_e64 v4, s[28:29], v4, v32
	v_sub_u32_e32 v12, v12, v55
	v_addc_co_u32_e64 v5, s[28:29], v5, v33, s[28:29]
	v_cmp_gt_i32_e64 s[28:29], 16, v12
	v_sub_u32_e32 v10, v10, v42
	s_or_b64 s[36:37], s[28:29], s[36:37]
	s_waitcnt vmcnt(0)
	global_store_dwordx4 v[18:19], v[14:17], off glc slc
	s_andn2_b64 exec, exec, s[36:37]
	s_cbranch_execnz .LBB16_683
; %bb.684:                              ;   in Loop: Header=BB16_553 Depth=3
	s_or_b64 exec, exec, s[36:37]
	buffer_load_dword v16, off, s[0:3], s33 offset:152 ; 4-byte Folded Reload
	buffer_load_dword v17, off, s[0:3], s33 offset:156 ; 4-byte Folded Reload
.LBB16_685:                             ;   in Loop: Header=BB16_553 Depth=3
	s_or_b64 exec, exec, s[34:35]
	v_and_b32_e32 v2, 15, v59
	v_cndmask_b32_e32 v19, v11, v2, vcc
	v_cmp_ne_u32_e64 s[28:29], 0, v19
	s_mov_b64 s[34:35], 0
	v_mov_b32_e32 v18, 0
                                        ; implicit-def: $vgpr22
                                        ; implicit-def: $vgpr4
	s_and_saveexec_b64 s[36:37], s[28:29]
	s_cbranch_execz .LBB16_687
; %bb.686:                              ;   in Loop: Header=BB16_553 Depth=3
	v_sub_u32_e32 v2, v11, v2
	v_cndmask_b32_e32 v2, 0, v2, vcc
	v_cmp_lt_i32_e32 vcc, 0, v10
	v_add3_u32 v18, v7, v0, v2
	v_cndmask_b32_e32 v0, 0, v42, vcc
	v_sub_u32_e32 v0, v0, v10
	v_lshl_add_u32 v22, v0, 6, v1
	v_ashrrev_i32_e32 v0, 31, v22
	v_lshrrev_b32_e32 v0, 26, v0
	v_add_u32_e32 v0, v22, v0
	s_mov_b64 s[34:35], exec
	v_ashrrev_i32_e32 v4, 6, v0
.LBB16_687:                             ;   in Loop: Header=BB16_553 Depth=3
	s_or_b64 exec, exec, s[36:37]
	s_and_b64 s[34:35], s[34:35], exec
.LBB16_688:                             ;   in Loop: Header=BB16_553 Depth=3
	s_or_b64 exec, exec, s[30:31]
	s_and_saveexec_b64 s[28:29], s[34:35]
	s_cbranch_execz .LBB16_671
.LBB16_689:                             ;   in Loop: Header=BB16_553 Depth=3
	v_ashrrev_i32_e32 v0, 31, v19
	v_lshrrev_b32_e32 v0, 21, v0
	v_add_u32_e32 v0, v19, v0
	v_ashrrev_i32_e32 v1, 11, v0
	v_sub_u32_e32 v0, v1, v4
	v_cmp_lt_i32_e32 vcc, 0, v0
	s_and_saveexec_b64 s[30:31], vcc
	s_cbranch_execz .LBB16_693
; %bb.690:                              ;   in Loop: Header=BB16_553 Depth=3
	v_ashrrev_i32_e32 v5, 31, v22
	s_trap 2
	ds_read_b64 v[2:3], v0
	v_lshrrev_b32_e32 v5, 26, v5
	v_add_u32_e32 v5, v22, v5
	v_and_b32_e32 v5, 0xffffffc0, v5
	v_sub_u32_e32 v5, v22, v5
	v_lshlrev_b32_e32 v4, 11, v4
	v_accvgpr_write_b32 a30, v34
	v_add3_u32 v4, v18, v5, v4
	v_accvgpr_write_b32 a31, v35
	v_accvgpr_write_b32 a23, v21
	v_ashrrev_i32_e32 v5, 31, v4
	s_mov_b64 s[34:35], 0
	s_waitcnt lgkmcnt(0)
	v_pk_mov_b32 v[14:15], v[2:3], v[2:3] op_sel:[0,1]
	v_mov_b32_e32 v36, v42
.LBB16_691:                             ;   Parent Loop BB16_81 Depth=1
                                        ;     Parent Loop BB16_550 Depth=2
                                        ;       Parent Loop BB16_553 Depth=3
                                        ; =>      This Inner Loop Header: Depth=4
	v_add_co_u32_e32 v10, vcc, v4, v14
	v_addc_co_u32_e32 v11, vcc, v5, v15, vcc
	flat_load_ubyte v7, v[10:11] glc slc
	flat_load_ubyte v12, v[10:11] offset:64 glc slc
	flat_load_ubyte v13, v[10:11] offset:128 glc slc
	;; [unrolled: 1-line block ×30, first 2 shown]
	s_nop 0
	flat_load_ubyte v10, v[10:11] offset:1984 glc slc
	s_waitcnt vmcnt(0)
	v_add_co_u32_e32 v16, vcc, v4, v2
	v_addc_co_u32_e32 v17, vcc, v5, v3, vcc
	v_add_co_u32_e32 v14, vcc, v14, v8
	v_addc_co_u32_e32 v15, vcc, v15, v9, vcc
	v_add_co_u32_e32 v2, vcc, v2, v8
	v_sub_u32_e32 v0, v0, v36
	v_addc_co_u32_e32 v3, vcc, v3, v9, vcc
	v_cmp_gt_i32_e32 vcc, 1, v0
	s_or_b64 s[34:35], vcc, s[34:35]
	s_waitcnt lgkmcnt(0)
	flat_store_byte v[16:17], v7 glc slc
	flat_store_byte v[16:17], v12 offset:64 glc slc
	flat_store_byte v[16:17], v13 offset:128 glc slc
	;; [unrolled: 1-line block ×31, first 2 shown]
	s_andn2_b64 exec, exec, s[34:35]
	s_cbranch_execnz .LBB16_691
; %bb.692:                              ;   in Loop: Header=BB16_553 Depth=3
	s_or_b64 exec, exec, s[34:35]
	buffer_load_dword v16, off, s[0:3], s33 offset:152 ; 4-byte Folded Reload
	buffer_load_dword v17, off, s[0:3], s33 offset:156 ; 4-byte Folded Reload
	v_accvgpr_read_b32 v41, a21
	v_accvgpr_read_b32 v45, a25
	;; [unrolled: 1-line block ×10, first 2 shown]
	v_mov_b32_e32 v42, v36
	v_accvgpr_read_b32 v34, a30
	v_accvgpr_read_b32 v51, a28
	v_mov_b32_e32 v53, 1
	v_accvgpr_read_b32 v55, a35
	v_accvgpr_read_b32 v24, a36
	;; [unrolled: 1-line block ×11, first 2 shown]
.LBB16_693:                             ;   in Loop: Header=BB16_553 Depth=3
	s_or_b64 exec, exec, s[30:31]
	v_lshlrev_b32_e32 v1, 11, v1
	v_cmp_ne_u32_e32 vcc, v19, v1
	s_and_saveexec_b64 s[30:31], vcc
	s_cbranch_execz .LBB16_697
; %bb.694:                              ;   in Loop: Header=BB16_553 Depth=3
	v_ashrrev_i32_e32 v2, 31, v22
	v_lshrrev_b32_e32 v2, 26, v2
	v_add_u32_e32 v2, v22, v2
	v_and_b32_e32 v2, 0xffffffc0, v2
	v_sub_u32_e32 v2, v22, v2
	v_lshlrev_b32_e32 v0, 6, v0
	v_sub_u32_e32 v0, v2, v0
	v_add_u32_e32 v1, v1, v0
	v_sub_u32_e32 v0, v19, v1
	v_cmp_lt_i32_e32 vcc, 0, v0
	s_and_b64 exec, exec, vcc
	s_cbranch_execz .LBB16_697
; %bb.695:                              ;   in Loop: Header=BB16_553 Depth=3
	s_trap 2
	ds_read_b64 v[2:3], v0
	v_add_u32_e32 v4, v1, v18
	v_ashrrev_i32_e32 v5, 31, v4
	s_mov_b64 s[34:35], 0
.LBB16_696:                             ;   Parent Loop BB16_81 Depth=1
                                        ;     Parent Loop BB16_550 Depth=2
                                        ;       Parent Loop BB16_553 Depth=3
                                        ; =>      This Inner Loop Header: Depth=4
	s_waitcnt lgkmcnt(0)
	v_add_co_u32_e32 v10, vcc, v2, v4
	v_addc_co_u32_e32 v11, vcc, v3, v5, vcc
	flat_load_ubyte v1, v[10:11] glc slc
	v_add_co_u32_e32 v4, vcc, v4, v57
	v_sub_u32_e32 v0, v0, v51
	v_addc_co_u32_e32 v5, vcc, v5, v60, vcc
	v_cmp_gt_i32_e32 vcc, 1, v0
	s_or_b64 s[34:35], vcc, s[34:35]
	s_waitcnt vmcnt(0) lgkmcnt(0)
	flat_store_byte v[10:11], v1 glc slc
	s_andn2_b64 exec, exec, s[34:35]
	s_cbranch_execnz .LBB16_696
.LBB16_697:                             ;   in Loop: Header=BB16_553 Depth=3
	s_or_b64 exec, exec, s[30:31]
	s_or_b64 exec, exec, s[28:29]
	s_and_saveexec_b64 s[28:29], s[10:11]
	s_cbranch_execnz .LBB16_627
	s_branch .LBB16_672
.LBB16_698:                             ;   in Loop: Header=BB16_553 Depth=3
	s_or_b64 exec, exec, s[58:59]
	s_and_saveexec_b64 vcc, s[60:61]
	s_xor_b64 vcc, exec, vcc
	s_cbranch_execz .LBB16_700
; %bb.699:                              ;   in Loop: Header=BB16_553 Depth=3
	ds_write_b32 v0, v53
	s_trap 2
.LBB16_700:                             ;   in Loop: Header=BB16_553 Depth=3
	s_or_b64 exec, exec, s[36:37]
	;;#ASMSTART
	s_wakeup
	;;#ASMEND
.LBB16_701:                             ;   in Loop: Header=BB16_553 Depth=3
	s_or_b64 exec, exec, s[34:35]
.LBB16_702:                             ;   in Loop: Header=BB16_553 Depth=3
	s_andn2_saveexec_b64 vcc, s[30:31]
	s_cbranch_execz .LBB16_704
; %bb.703:                              ;   in Loop: Header=BB16_553 Depth=3
	s_waitcnt vmcnt(0) lgkmcnt(0)
	buffer_wbinvl1_vol
	s_barrier
.LBB16_704:                             ;   in Loop: Header=BB16_553 Depth=3
	s_or_b64 exec, exec, vcc
	s_or_b64 exec, exec, s[28:29]
                                        ; implicit-def: $vgpr0
	s_and_saveexec_b64 s[28:29], s[24:25]
	s_xor_b64 s[30:31], exec, s[28:29]
	s_cbranch_execnz .LBB16_673
.LBB16_705:                             ;   in Loop: Header=BB16_553 Depth=3
	s_andn2_saveexec_b64 s[28:29], s[30:31]
	s_cbranch_execz .LBB16_724
.LBB16_706:                             ;   in Loop: Header=BB16_553 Depth=3
	s_and_saveexec_b64 vcc, s[46:47]
	s_xor_b64 s[30:31], exec, vcc
	s_cbranch_execz .LBB16_721
; %bb.707:                              ;   in Loop: Header=BB16_553 Depth=3
	s_and_saveexec_b64 s[34:35], s[16:17]
	s_cbranch_execz .LBB16_720
; %bb.708:                              ;   in Loop: Header=BB16_553 Depth=3
	s_mov_b64 s[58:59], exec
	v_mbcnt_lo_u32_b32 v0, s58, 0
	v_mbcnt_hi_u32_b32 v0, s59, v0
	v_cmp_eq_u32_e32 vcc, 0, v0
	;;#ASMSTART
	s_waitcnt lgkmcnt(0) vmcnt(0)
	;;#ASMEND
	s_and_saveexec_b64 s[36:37], vcc
	s_cbranch_execz .LBB16_710
; %bb.709:                              ;   in Loop: Header=BB16_553 Depth=3
	s_bcnt1_i32_b64 vcc_lo, s[58:59]
	v_mov_b32_e32 v20, vcc_lo
	ds_add_u64 v0, v[20:21]
	s_trap 2
.LBB16_710:                             ;   in Loop: Header=BB16_553 Depth=3
	s_or_b64 exec, exec, s[36:37]
	s_trap 2
	ds_read_b64 v[0:1], v0
	v_add_co_u32_e32 v34, vcc, v34, v42
	v_addc_co_u32_e32 v35, vcc, 0, v35, vcc
	s_waitcnt lgkmcnt(0)
	v_cmp_lt_u64_e32 vcc, v[0:1], v[34:35]
	s_and_saveexec_b64 s[36:37], vcc
	s_cbranch_execz .LBB16_719
; %bb.711:                              ;   in Loop: Header=BB16_553 Depth=3
	s_mov_b32 s77, 0
	s_mov_b64 s[58:59], 0
                                        ; implicit-def: $sgpr60_sgpr61
                                        ; implicit-def: $sgpr62_sgpr63
	s_branch .LBB16_713
.LBB16_712:                             ;   in Loop: Header=BB16_713 Depth=4
	s_or_b64 exec, exec, s[66:67]
	s_and_b64 vcc, exec, vcc
	s_or_b64 s[58:59], vcc, s[58:59]
	s_andn2_b64 vcc, s[60:61], exec
	s_and_b64 s[60:61], s[62:63], exec
	s_or_b64 s[60:61], vcc, s[60:61]
	s_andn2_b64 exec, exec, s[58:59]
	s_cbranch_execz .LBB16_717
.LBB16_713:                             ;   Parent Loop BB16_81 Depth=1
                                        ;     Parent Loop BB16_550 Depth=2
                                        ;       Parent Loop BB16_553 Depth=3
                                        ; =>      This Inner Loop Header: Depth=4
	s_add_i32 s77, s77, 1
	s_cmpk_lg_i32 s77, 0x2710
	s_cselect_b64 s[64:65], -1, 0
	s_and_b64 vcc, exec, s[64:65]
                                        ; implicit-def: $sgpr66_sgpr67
	s_cbranch_vccnz .LBB16_715
; %bb.714:                              ;   in Loop: Header=BB16_713 Depth=4
	s_trap 2
	ds_read_b64 v[0:1], v0
	s_andn2_b64 s[64:65], s[64:65], exec
	s_mov_b32 s77, 0
	s_mov_b64 s[66:67], -1
	s_waitcnt vmcnt(0) lgkmcnt(0)
	flat_load_dword v0, v[0:1] glc
	s_waitcnt vmcnt(0) lgkmcnt(0)
	buffer_invl2
	buffer_wbinvl1_vol
	v_cmp_eq_u32_e32 vcc, 0, v0
	s_and_b64 vcc, vcc, exec
	s_or_b64 s[64:65], s[64:65], vcc
.LBB16_715:                             ;   in Loop: Header=BB16_713 Depth=4
	s_andn2_b64 s[62:63], s[62:63], exec
	s_and_b64 s[66:67], s[66:67], exec
	s_mov_b64 vcc, -1
	s_or_b64 s[62:63], s[62:63], s[66:67]
	s_and_saveexec_b64 s[66:67], s[64:65]
	s_cbranch_execz .LBB16_712
; %bb.716:                              ;   in Loop: Header=BB16_713 Depth=4
	s_sleep 1
	s_trap 2
	ds_read_b64 v[0:1], v0
	s_andn2_b64 s[62:63], s[62:63], exec
	s_waitcnt lgkmcnt(0)
	v_cmp_ge_u64_e32 vcc, v[0:1], v[34:35]
	s_orn2_b64 vcc, vcc, exec
	s_branch .LBB16_712
.LBB16_717:                             ;   in Loop: Header=BB16_553 Depth=3
	s_or_b64 exec, exec, s[58:59]
	s_and_saveexec_b64 vcc, s[60:61]
	s_xor_b64 vcc, exec, vcc
	s_cbranch_execz .LBB16_719
; %bb.718:                              ;   in Loop: Header=BB16_553 Depth=3
	ds_write_b32 v0, v53
	s_trap 2
.LBB16_719:                             ;   in Loop: Header=BB16_553 Depth=3
	s_or_b64 exec, exec, s[36:37]
	;;#ASMSTART
	s_wakeup
	;;#ASMEND
.LBB16_720:                             ;   in Loop: Header=BB16_553 Depth=3
	s_or_b64 exec, exec, s[34:35]
.LBB16_721:                             ;   in Loop: Header=BB16_553 Depth=3
	s_andn2_saveexec_b64 vcc, s[30:31]
	s_cbranch_execz .LBB16_723
; %bb.722:                              ;   in Loop: Header=BB16_553 Depth=3
	;;#ASMSTART
	s_waitcnt lgkmcnt(0) vmcnt(0)
	;;#ASMEND
	s_barrier
.LBB16_723:                             ;   in Loop: Header=BB16_553 Depth=3
	s_or_b64 exec, exec, vcc
	v_and_b32_e32 v0, 16, v62
.LBB16_724:                             ;   in Loop: Header=BB16_553 Depth=3
	s_or_b64 exec, exec, s[28:29]
	v_cmp_ne_u32_e32 vcc, 0, v0
	s_xor_b64 s[28:29], s[12:13], -1
	s_and_b64 vcc, vcc, s[28:29]
	s_and_saveexec_b64 s[28:29], vcc
	s_cbranch_execz .LBB16_726
; %bb.725:                              ;   in Loop: Header=BB16_553 Depth=3
	flat_store_dword v[46:47], v53
.LBB16_726:                             ;   in Loop: Header=BB16_553 Depth=3
	s_or_b64 exec, exec, s[28:29]
	v_and_b32_e32 v0, 48, v62
	v_cmp_ne_u32_e32 vcc, 0, v0
	s_and_saveexec_b64 s[28:29], vcc
	s_cbranch_execz .LBB16_552
; %bb.727:                              ;   in Loop: Header=BB16_553 Depth=3
	v_add_co_u32_e32 v26, vcc, 2, v26
	v_addc_co_u32_e32 v27, vcc, 0, v27, vcc
	flat_store_dwordx2 v[28:29], v[26:27]
	s_branch .LBB16_552
.LBB16_728:                             ;   in Loop: Header=BB16_550 Depth=2
	s_or_b64 exec, exec, s[52:53]
	v_cmp_gt_i32_e32 vcc, 2, v0
	s_and_saveexec_b64 s[30:31], vcc
	s_cbranch_execz .LBB16_802
.LBB16_729:                             ;   in Loop: Header=BB16_550 Depth=2
	v_cmp_eq_u32_e64 s[28:29], 0, v0
	s_mov_b64 s[34:35], 0
	s_branch .LBB16_731
.LBB16_730:                             ;   in Loop: Header=BB16_731 Depth=3
	s_or_b64 exec, exec, s[28:29]
	v_add_u32_e32 v6, v58, v6
	s_mov_b64 s[28:29], 0
	s_andn2_b64 exec, exec, s[34:35]
	s_cbranch_execz .LBB16_803
.LBB16_731:                             ;   Parent Loop BB16_81 Depth=1
                                        ;     Parent Loop BB16_550 Depth=2
                                        ; =>    This Loop Header: Depth=3
                                        ;         Child Loop BB16_737 Depth 4
                                        ;         Child Loop BB16_775 Depth 4
	;; [unrolled: 1-line block ×3, first 2 shown]
	v_and_b32_e32 v0, 12, v62
	s_mov_b64 s[52:53], -1
	v_cmp_ne_u32_e32 vcc, 0, v0
	s_and_saveexec_b64 s[36:37], vcc
	s_cbranch_execz .LBB16_743
; %bb.732:                              ;   in Loop: Header=BB16_731 Depth=3
	v_and_b32_e32 v2, 8, v62
	v_add_co_u32_e32 v0, vcc, v38, v2
	v_addc_co_u32_e32 v1, vcc, 0, v39, vcc
	v_add_co_u32_e32 v4, vcc, 2, v26
	v_addc_co_u32_e32 v5, vcc, 0, v27, vcc
	v_cmp_lt_u64_e32 vcc, v[0:1], v[4:5]
	v_mov_b32_e32 v0, 1
	s_and_saveexec_b64 s[52:53], vcc
	s_cbranch_execz .LBB16_742
; %bb.733:                              ;   in Loop: Header=BB16_731 Depth=3
	s_mov_b64 s[54:55], 0
	v_mov_b32_e32 v0, 0
                                        ; implicit-def: $sgpr56_sgpr57
	s_branch .LBB16_737
.LBB16_734:                             ;   in Loop: Header=BB16_737 Depth=4
	s_or_b64 exec, exec, s[64:65]
	v_mov_b32_e32 v1, 0
	s_orn2_b64 s[62:63], s[62:63], exec
.LBB16_735:                             ;   in Loop: Header=BB16_737 Depth=4
	s_or_b64 exec, exec, s[60:61]
	s_andn2_b64 vcc, s[56:57], exec
	s_and_b64 s[56:57], s[62:63], exec
	s_or_b64 s[56:57], vcc, s[56:57]
	v_mov_b32_e32 v0, v1
.LBB16_736:                             ;   in Loop: Header=BB16_737 Depth=4
	s_or_b64 exec, exec, s[58:59]
	s_waitcnt vmcnt(0) lgkmcnt(0)
	v_add_co_u32_e32 v10, vcc, v38, v2
	v_addc_co_u32_e32 v11, vcc, 0, v39, vcc
	v_cmp_ge_u64_e32 vcc, v[10:11], v[4:5]
	s_xor_b64 s[58:59], s[56:57], -1
	s_or_b64 vcc, s[58:59], vcc
	s_and_b64 vcc, exec, vcc
	s_or_b64 s[54:55], vcc, s[54:55]
	s_andn2_b64 exec, exec, s[54:55]
	s_cbranch_execz .LBB16_741
.LBB16_737:                             ;   Parent Loop BB16_81 Depth=1
                                        ;     Parent Loop BB16_550 Depth=2
                                        ;       Parent Loop BB16_731 Depth=3
                                        ; =>      This Inner Loop Header: Depth=4
	s_sleep 1
	flat_load_dwordx2 v[38:39], v[28:29] glc
	v_and_b32_e32 v1, 64, v62
	v_cmp_eq_u32_e32 vcc, 0, v1
	s_andn2_b64 s[56:57], s[56:57], exec
	s_and_saveexec_b64 s[58:59], vcc
	s_cbranch_execz .LBB16_736
; %bb.738:                              ;   in Loop: Header=BB16_737 Depth=4
	v_add_u32_e32 v1, 1, v0
	v_cmp_lt_i32_e32 vcc, s73, v0
	s_mov_b64 s[62:63], -1
	s_and_saveexec_b64 s[60:61], vcc
	s_cbranch_execz .LBB16_735
; %bb.739:                              ;   in Loop: Header=BB16_737 Depth=4
	s_trap 2
	ds_read_b64 v[0:1], v0
	s_waitcnt vmcnt(0) lgkmcnt(0)
	flat_load_dword v0, v[0:1] glc
	s_waitcnt vmcnt(0) lgkmcnt(0)
	buffer_invl2
	buffer_wbinvl1_vol
	v_cmp_ne_u32_e32 vcc, 0, v0
	s_and_saveexec_b64 s[64:65], vcc
	s_cbranch_execz .LBB16_734
; %bb.740:                              ;   in Loop: Header=BB16_737 Depth=4
	v_or_b32_e32 v62, 64, v62
	s_xor_b64 s[62:63], exec, -1
	ds_write_b32 v0, v0
	s_trap 2
	s_branch .LBB16_734
.LBB16_741:                             ;   in Loop: Header=BB16_731 Depth=3
	s_or_b64 exec, exec, s[54:55]
	v_and_b32_e32 v0, 12, v62
.LBB16_742:                             ;   in Loop: Header=BB16_731 Depth=3
	s_or_b64 exec, exec, s[52:53]
	v_cmp_eq_u32_e32 vcc, 0, v0
	s_orn2_b64 s[52:53], vcc, exec
	;;#ASMSTART
	s_wakeup
	;;#ASMEND
.LBB16_743:                             ;   in Loop: Header=BB16_731 Depth=3
	s_or_b64 exec, exec, s[36:37]
	s_xor_b64 s[28:29], s[28:29], -1
	s_and_b64 s[28:29], exec, s[28:29]
	s_or_b64 s[34:35], s[28:29], s[34:35]
	v_sub_u32_e32 v0, v13, v6
	s_xor_b64 s[28:29], s[52:53], -1
	v_min_i32_e32 v58, v58, v0
	s_and_saveexec_b64 s[36:37], s[28:29]
	s_cbranch_execz .LBB16_767
; %bb.744:                              ;   in Loop: Header=BB16_731 Depth=3
	v_and_b32_e32 v0, 0x108, v62
	v_cmp_ne_u32_e32 vcc, s74, v0
	v_and_b32_e32 v2, 7, v26
	s_and_saveexec_b64 s[28:29], vcc
	s_xor_b64 s[28:29], exec, s[28:29]
	s_andn2_saveexec_b64 s[28:29], s[28:29]
	s_cbranch_execz .LBB16_746
; %bb.745:                              ;   in Loop: Header=BB16_731 Depth=3
	v_mad_u64_u32 v[0:1], vcc, v2, 24, v[40:41]
	v_ashrrev_i32_e32 v59, 31, v58
	flat_store_dwordx2 v[0:1], v[58:59] offset:8
.LBB16_746:                             ;   in Loop: Header=BB16_731 Depth=3
	s_or_b64 exec, exec, s[28:29]
	v_and_b32_e32 v0, 0x100, v62
	v_cmp_ne_u32_e32 vcc, 0, v0
	s_mov_b64 s[28:29], -1
                                        ; implicit-def: $vgpr4_vgpr5
	s_and_saveexec_b64 s[52:53], vcc
	s_cbranch_execz .LBB16_750
; %bb.747:                              ;   in Loop: Header=BB16_731 Depth=3
	v_mad_u64_u32 v[14:15], s[28:29], v2, 24, v[40:41]
	v_mov_b32_e32 v0, v15
	v_mad_u64_u32 v[0:1], s[28:29], v21, 24, v[0:1]
	v_mov_b32_e32 v15, v0
	flat_load_dword v0, v[14:15]
                                        ; implicit-def: $vgpr4_vgpr5
	s_waitcnt vmcnt(0) lgkmcnt(0)
	v_cmp_ne_u32_e32 vcc, 1, v0
	v_cmp_eq_u32_e64 s[28:29], 1, v0
	s_and_saveexec_b64 s[54:55], s[28:29]
	s_cbranch_execz .LBB16_749
; %bb.748:                              ;   in Loop: Header=BB16_731 Depth=3
	flat_load_dword v4, v[14:15] offset:4 glc
	s_waitcnt vmcnt(0) lgkmcnt(0)
	v_ashrrev_i32_e32 v5, 31, v4
.LBB16_749:                             ;   in Loop: Header=BB16_731 Depth=3
	s_or_b64 exec, exec, s[54:55]
	s_orn2_b64 s[28:29], vcc, exec
.LBB16_750:                             ;   in Loop: Header=BB16_731 Depth=3
	s_or_b64 exec, exec, s[52:53]
	s_and_saveexec_b64 vcc, s[28:29]
; %bb.751:                              ;   in Loop: Header=BB16_731 Depth=3
	v_mul_lo_u32 v0, v21, v54
	v_mul_lo_u32 v1, v2, v49
	v_mad_u64_u32 v[4:5], s[28:29], v2, v54, 0
	v_add3_u32 v5, v5, v1, v0
; %bb.752:                              ;   in Loop: Header=BB16_731 Depth=3
	s_or_b64 exec, exec, vcc
	v_add_co_u32_e32 v0, vcc, v44, v4
	v_addc_co_u32_e32 v1, vcc, v45, v5, vcc
	s_trap 2
	ds_write_b64 v0, v[0:1]
	v_and_b32_e32 v0, 0x2000, v62
	v_cmp_ne_u32_e32 vcc, 0, v0
	s_and_saveexec_b64 s[28:29], vcc
	s_cbranch_execz .LBB16_754
; %bb.753:                              ;   in Loop: Header=BB16_731 Depth=3
	ds_read_b64 v[0:1], v0 offset:584
	s_waitcnt lgkmcnt(0)
	v_add_co_u32_e32 v0, vcc, 1, v0
	v_addc_co_u32_e32 v1, vcc, 0, v1, vcc
	ds_write_b64 v0, v[0:1] offset:584
.LBB16_754:                             ;   in Loop: Header=BB16_731 Depth=3
	s_or_b64 exec, exec, s[28:29]
	v_add_co_u32_e32 v26, vcc, 2, v26
	v_addc_co_u32_e32 v27, vcc, 0, v27, vcc
	s_or_b64 exec, exec, s[36:37]
	s_and_saveexec_b64 s[28:29], s[10:11]
	s_cbranch_execnz .LBB16_768
.LBB16_755:                             ;   in Loop: Header=BB16_731 Depth=3
	s_or_b64 exec, exec, s[28:29]
                                        ; implicit-def: $vgpr0
	s_and_saveexec_b64 s[28:29], s[50:51]
	s_xor_b64 s[28:29], exec, s[28:29]
	s_cbranch_execz .LBB16_793
.LBB16_756:                             ;   in Loop: Header=BB16_731 Depth=3
	s_and_saveexec_b64 vcc, s[46:47]
	s_xor_b64 s[36:37], exec, vcc
	s_cbranch_execz .LBB16_783
; %bb.757:                              ;   in Loop: Header=BB16_731 Depth=3
	s_and_saveexec_b64 s[52:53], s[16:17]
	s_cbranch_execz .LBB16_782
; %bb.758:                              ;   in Loop: Header=BB16_731 Depth=3
	s_mov_b64 s[56:57], exec
	v_mbcnt_lo_u32_b32 v0, s56, 0
	v_mbcnt_hi_u32_b32 v0, s57, v0
	v_cmp_eq_u32_e32 vcc, 0, v0
	;;#ASMSTART
	s_waitcnt lgkmcnt(0) vmcnt(0)
	;;#ASMEND
	s_and_saveexec_b64 s[54:55], vcc
	s_cbranch_execz .LBB16_760
; %bb.759:                              ;   in Loop: Header=BB16_731 Depth=3
	s_bcnt1_i32_b64 vcc_lo, s[56:57]
	v_mov_b32_e32 v20, vcc_lo
	ds_add_u64 v0, v[20:21]
	s_trap 2
.LBB16_760:                             ;   in Loop: Header=BB16_731 Depth=3
	s_or_b64 exec, exec, s[54:55]
	s_trap 2
	ds_read_b64 v[0:1], v0
	v_add_co_u32_e32 v34, vcc, v34, v42
	v_addc_co_u32_e32 v35, vcc, 0, v35, vcc
	s_waitcnt lgkmcnt(0)
	v_cmp_lt_u64_e32 vcc, v[0:1], v[34:35]
	s_and_saveexec_b64 s[54:55], vcc
	s_cbranch_execz .LBB16_781
; %bb.761:                              ;   in Loop: Header=BB16_731 Depth=3
	s_mov_b32 s66, 0
	s_mov_b64 s[56:57], 0
                                        ; implicit-def: $sgpr58_sgpr59
                                        ; implicit-def: $sgpr60_sgpr61
	s_branch .LBB16_763
.LBB16_762:                             ;   in Loop: Header=BB16_763 Depth=4
	s_or_b64 exec, exec, s[64:65]
	s_and_b64 vcc, exec, vcc
	s_or_b64 s[56:57], vcc, s[56:57]
	s_andn2_b64 vcc, s[58:59], exec
	s_and_b64 s[58:59], s[60:61], exec
	s_or_b64 s[58:59], vcc, s[58:59]
	s_andn2_b64 exec, exec, s[56:57]
	s_cbranch_execz .LBB16_779
.LBB16_763:                             ;   Parent Loop BB16_81 Depth=1
                                        ;     Parent Loop BB16_550 Depth=2
                                        ;       Parent Loop BB16_731 Depth=3
                                        ; =>      This Inner Loop Header: Depth=4
	s_add_i32 s66, s66, 1
	s_cmpk_lg_i32 s66, 0x2710
	s_cselect_b64 s[62:63], -1, 0
	s_and_b64 vcc, exec, s[62:63]
                                        ; implicit-def: $sgpr64_sgpr65
	s_cbranch_vccnz .LBB16_765
; %bb.764:                              ;   in Loop: Header=BB16_763 Depth=4
	s_trap 2
	ds_read_b64 v[0:1], v0
	s_andn2_b64 s[62:63], s[62:63], exec
	s_mov_b32 s66, 0
	s_mov_b64 s[64:65], -1
	s_waitcnt vmcnt(0) lgkmcnt(0)
	flat_load_dword v0, v[0:1] glc
	s_waitcnt vmcnt(0) lgkmcnt(0)
	buffer_invl2
	buffer_wbinvl1_vol
	v_cmp_eq_u32_e32 vcc, 0, v0
	s_and_b64 vcc, vcc, exec
	s_or_b64 s[62:63], s[62:63], vcc
.LBB16_765:                             ;   in Loop: Header=BB16_763 Depth=4
	s_andn2_b64 s[60:61], s[60:61], exec
	s_and_b64 s[64:65], s[64:65], exec
	s_mov_b64 vcc, -1
	s_or_b64 s[60:61], s[60:61], s[64:65]
	s_and_saveexec_b64 s[64:65], s[62:63]
	s_cbranch_execz .LBB16_762
; %bb.766:                              ;   in Loop: Header=BB16_763 Depth=4
	s_sleep 1
	s_trap 2
	ds_read_b64 v[0:1], v0
	s_andn2_b64 s[60:61], s[60:61], exec
	s_waitcnt lgkmcnt(0)
	v_cmp_ge_u64_e32 vcc, v[0:1], v[34:35]
	s_orn2_b64 vcc, vcc, exec
	s_branch .LBB16_762
.LBB16_767:                             ;   in Loop: Header=BB16_731 Depth=3
	s_or_b64 exec, exec, s[36:37]
	s_and_saveexec_b64 s[28:29], s[10:11]
	s_cbranch_execz .LBB16_755
.LBB16_768:                             ;   in Loop: Header=BB16_731 Depth=3
	s_and_saveexec_b64 vcc, s[46:47]
	s_xor_b64 s[36:37], exec, vcc
	s_cbranch_execz .LBB16_790
; %bb.769:                              ;   in Loop: Header=BB16_731 Depth=3
	s_and_saveexec_b64 s[52:53], s[16:17]
	s_cbranch_execz .LBB16_789
; %bb.770:                              ;   in Loop: Header=BB16_731 Depth=3
	s_mov_b64 s[56:57], exec
	v_mbcnt_lo_u32_b32 v0, s56, 0
	v_mbcnt_hi_u32_b32 v0, s57, v0
	v_cmp_eq_u32_e32 vcc, 0, v0
	s_waitcnt vmcnt(0) lgkmcnt(0)
	buffer_wbinvl1_vol
	s_and_saveexec_b64 s[54:55], vcc
	s_cbranch_execz .LBB16_772
; %bb.771:                              ;   in Loop: Header=BB16_731 Depth=3
	s_bcnt1_i32_b64 vcc_lo, s[56:57]
	v_mov_b32_e32 v20, vcc_lo
	ds_add_u64 v0, v[20:21]
	s_trap 2
.LBB16_772:                             ;   in Loop: Header=BB16_731 Depth=3
	s_or_b64 exec, exec, s[54:55]
	s_trap 2
	ds_read_b64 v[0:1], v0
	v_add_co_u32_e32 v34, vcc, v34, v42
	v_addc_co_u32_e32 v35, vcc, 0, v35, vcc
	s_waitcnt lgkmcnt(0)
	v_cmp_lt_u64_e32 vcc, v[0:1], v[34:35]
	s_and_saveexec_b64 s[54:55], vcc
	s_cbranch_execz .LBB16_788
; %bb.773:                              ;   in Loop: Header=BB16_731 Depth=3
	s_mov_b32 s66, 0
	s_mov_b64 s[56:57], 0
                                        ; implicit-def: $sgpr58_sgpr59
                                        ; implicit-def: $sgpr60_sgpr61
	s_branch .LBB16_775
.LBB16_774:                             ;   in Loop: Header=BB16_775 Depth=4
	s_or_b64 exec, exec, s[64:65]
	s_and_b64 vcc, exec, vcc
	s_or_b64 s[56:57], vcc, s[56:57]
	s_andn2_b64 vcc, s[58:59], exec
	s_and_b64 s[58:59], s[60:61], exec
	s_or_b64 s[58:59], vcc, s[58:59]
	s_andn2_b64 exec, exec, s[56:57]
	s_cbranch_execz .LBB16_786
.LBB16_775:                             ;   Parent Loop BB16_81 Depth=1
                                        ;     Parent Loop BB16_550 Depth=2
                                        ;       Parent Loop BB16_731 Depth=3
                                        ; =>      This Inner Loop Header: Depth=4
	s_add_i32 s66, s66, 1
	s_cmpk_lg_i32 s66, 0x2710
	s_cselect_b64 s[62:63], -1, 0
	s_and_b64 vcc, exec, s[62:63]
                                        ; implicit-def: $sgpr64_sgpr65
	s_cbranch_vccnz .LBB16_777
; %bb.776:                              ;   in Loop: Header=BB16_775 Depth=4
	s_trap 2
	ds_read_b64 v[0:1], v0
	s_andn2_b64 s[62:63], s[62:63], exec
	s_mov_b32 s66, 0
	s_mov_b64 s[64:65], -1
	s_waitcnt lgkmcnt(0)
	flat_load_dword v0, v[0:1] glc
	s_waitcnt vmcnt(0) lgkmcnt(0)
	buffer_invl2
	buffer_wbinvl1_vol
	v_cmp_eq_u32_e32 vcc, 0, v0
	s_and_b64 vcc, vcc, exec
	s_or_b64 s[62:63], s[62:63], vcc
.LBB16_777:                             ;   in Loop: Header=BB16_775 Depth=4
	s_andn2_b64 s[60:61], s[60:61], exec
	s_and_b64 s[64:65], s[64:65], exec
	s_mov_b64 vcc, -1
	s_or_b64 s[60:61], s[60:61], s[64:65]
	s_and_saveexec_b64 s[64:65], s[62:63]
	s_cbranch_execz .LBB16_774
; %bb.778:                              ;   in Loop: Header=BB16_775 Depth=4
	s_sleep 1
	s_trap 2
	ds_read_b64 v[0:1], v0
	s_andn2_b64 s[60:61], s[60:61], exec
	s_waitcnt lgkmcnt(0)
	v_cmp_ge_u64_e32 vcc, v[0:1], v[34:35]
	s_orn2_b64 vcc, vcc, exec
	s_branch .LBB16_774
.LBB16_779:                             ;   in Loop: Header=BB16_731 Depth=3
	s_or_b64 exec, exec, s[56:57]
	s_and_saveexec_b64 vcc, s[58:59]
	s_xor_b64 vcc, exec, vcc
	s_cbranch_execz .LBB16_781
; %bb.780:                              ;   in Loop: Header=BB16_731 Depth=3
	ds_write_b32 v0, v53
	s_trap 2
.LBB16_781:                             ;   in Loop: Header=BB16_731 Depth=3
	s_or_b64 exec, exec, s[54:55]
	;;#ASMSTART
	s_wakeup
	;;#ASMEND
.LBB16_782:                             ;   in Loop: Header=BB16_731 Depth=3
	s_or_b64 exec, exec, s[52:53]
.LBB16_783:                             ;   in Loop: Header=BB16_731 Depth=3
	s_andn2_saveexec_b64 vcc, s[36:37]
	s_cbranch_execz .LBB16_785
; %bb.784:                              ;   in Loop: Header=BB16_731 Depth=3
	;;#ASMSTART
	s_waitcnt lgkmcnt(0) vmcnt(0)
	;;#ASMEND
	s_barrier
.LBB16_785:                             ;   in Loop: Header=BB16_731 Depth=3
	s_or_b64 exec, exec, vcc
	v_and_b32_e32 v0, 16, v62
	s_andn2_saveexec_b64 s[28:29], s[28:29]
	s_cbranch_execz .LBB16_797
	s_branch .LBB16_794
.LBB16_786:                             ;   in Loop: Header=BB16_731 Depth=3
	s_or_b64 exec, exec, s[56:57]
	s_and_saveexec_b64 vcc, s[58:59]
	s_xor_b64 vcc, exec, vcc
	s_cbranch_execz .LBB16_788
; %bb.787:                              ;   in Loop: Header=BB16_731 Depth=3
	ds_write_b32 v0, v53
	s_trap 2
.LBB16_788:                             ;   in Loop: Header=BB16_731 Depth=3
	s_or_b64 exec, exec, s[54:55]
	;;#ASMSTART
	s_wakeup
	;;#ASMEND
.LBB16_789:                             ;   in Loop: Header=BB16_731 Depth=3
	s_or_b64 exec, exec, s[52:53]
.LBB16_790:                             ;   in Loop: Header=BB16_731 Depth=3
	s_andn2_saveexec_b64 vcc, s[36:37]
	s_cbranch_execz .LBB16_792
; %bb.791:                              ;   in Loop: Header=BB16_731 Depth=3
	s_waitcnt vmcnt(0) lgkmcnt(0)
	buffer_wbinvl1_vol
	s_barrier
.LBB16_792:                             ;   in Loop: Header=BB16_731 Depth=3
	s_or_b64 exec, exec, vcc
	s_or_b64 exec, exec, s[28:29]
                                        ; implicit-def: $vgpr0
	s_and_saveexec_b64 s[28:29], s[50:51]
	s_xor_b64 s[28:29], exec, s[28:29]
	s_cbranch_execnz .LBB16_756
.LBB16_793:                             ;   in Loop: Header=BB16_731 Depth=3
	s_andn2_saveexec_b64 s[28:29], s[28:29]
	s_cbranch_execz .LBB16_797
.LBB16_794:                             ;   in Loop: Header=BB16_731 Depth=3
	s_trap 2
	ds_read_b32 v1, v0
	v_cmp_lt_i32_e32 vcc, 0, v58
	v_and_b32_e32 v2, 16, v62
	v_and_b32_e32 v0, 16, v62
	s_waitcnt lgkmcnt(0)
	v_readfirstlane_b32 s36, v1
	s_cmp_eq_u32 s36, 0
	s_cselect_b64 s[36:37], -1, 0
	s_and_b64 s[36:37], vcc, s[36:37]
	v_cmp_ne_u32_e32 vcc, 0, v2
	s_and_b64 s[36:37], vcc, s[36:37]
	s_and_saveexec_b64 vcc, s[36:37]
	s_cbranch_execz .LBB16_796
; %bb.795:                              ;   in Loop: Header=BB16_731 Depth=3
	v_mov_b32_e32 v0, 1
	s_waitcnt vmcnt(0)
	buffer_wbinvl1_vol
.LBB16_796:                             ;   in Loop: Header=BB16_731 Depth=3
	s_or_b64 exec, exec, vcc
.LBB16_797:                             ;   in Loop: Header=BB16_731 Depth=3
	s_or_b64 exec, exec, s[28:29]
	v_cmp_ne_u32_e32 vcc, 0, v0
	s_xor_b64 s[28:29], s[12:13], -1
	s_and_b64 vcc, vcc, s[28:29]
	s_and_saveexec_b64 s[28:29], vcc
	s_cbranch_execz .LBB16_799
; %bb.798:                              ;   in Loop: Header=BB16_731 Depth=3
	flat_store_dword v[46:47], v53
.LBB16_799:                             ;   in Loop: Header=BB16_731 Depth=3
	s_or_b64 exec, exec, s[28:29]
	v_and_b32_e32 v0, 48, v62
	v_cmp_ne_u32_e32 vcc, 0, v0
	s_and_saveexec_b64 s[28:29], vcc
	s_cbranch_execz .LBB16_730
; %bb.800:                              ;   in Loop: Header=BB16_731 Depth=3
	v_add_co_u32_e32 v26, vcc, 2, v26
	v_addc_co_u32_e32 v27, vcc, 0, v27, vcc
	flat_store_dwordx2 v[28:29], v[26:27]
	s_branch .LBB16_730
.LBB16_801:                             ;   in Loop: Header=BB16_550 Depth=2
	s_or_b64 exec, exec, s[54:55]
	s_or_b64 exec, exec, s[52:53]
	v_cmp_gt_i32_e32 vcc, 2, v0
	s_and_saveexec_b64 s[30:31], vcc
	s_cbranch_execnz .LBB16_729
.LBB16_802:                             ;   in Loop: Header=BB16_550 Depth=2
	s_or_b64 exec, exec, s[30:31]
	s_add_i32 s28, s68, 1
	s_cmp_eq_u32 s68, s76
	s_cbranch_scc0 .LBB16_804
	s_branch .LBB16_805
.LBB16_803:                             ;   in Loop: Header=BB16_550 Depth=2
	s_or_b64 exec, exec, s[34:35]
	s_or_b64 exec, exec, s[30:31]
	s_add_i32 s28, s68, 1
	s_cmp_eq_u32 s68, s76
	s_cbranch_scc1 .LBB16_805
.LBB16_804:                             ;   in Loop: Header=BB16_550 Depth=2
	s_mov_b32 s68, s28
	s_branch .LBB16_550
.LBB16_805:                             ;   in Loop: Header=BB16_81 Depth=1
	v_mov_b32_e32 v0, 0
	v_mov_b32_e32 v6, 0
	s_and_saveexec_b64 s[28:29], s[26:27]
	s_cbranch_execz .LBB16_945
; %bb.806:                              ;   in Loop: Header=BB16_81 Depth=1
	v_accvgpr_read_b32 v0, a6
	v_accvgpr_read_b32 v1, a7
	flat_load_dword v0, v[0:1] offset:4
	v_accvgpr_read_b32 v4, a52
	v_accvgpr_read_b32 v2, a14
	;; [unrolled: 1-line block ×4, first 2 shown]
	s_mov_b32 s66, 1
	s_mov_b64 s[34:35], -1
	s_mov_b64 s[30:31], 0
	v_mov_b32_e32 v6, 0
	s_waitcnt vmcnt(0) lgkmcnt(0)
	v_ashrrev_i32_e32 v1, 31, v0
	v_mad_u64_u32 v[36:37], s[26:27], v2, v0, v[4:5]
	v_mul_lo_u32 v0, v3, v0
	v_mul_lo_u32 v1, v2, v1
	v_add3_u32 v37, v0, v37, v1
	s_branch .LBB16_808
.LBB16_807:                             ;   in Loop: Header=BB16_808 Depth=2
	s_or_b64 exec, exec, s[26:27]
	v_accvgpr_read_b32 v0, a50
	v_add_u32_e32 v6, v0, v6
	v_cmp_ge_i32_e32 vcc, v6, v13
	s_xor_b64 s[26:27], s[34:35], -1
	s_or_b64 s[26:27], s[26:27], vcc
	s_and_b64 s[26:27], exec, s[26:27]
	s_or_b64 s[30:31], s[26:27], s[30:31]
	s_mov_b64 s[34:35], 0
	v_mov_b32_e32 v0, s66
	s_mov_b32 s66, 2
	s_andn2_b64 exec, exec, s[30:31]
	s_cbranch_execz .LBB16_944
.LBB16_808:                             ;   Parent Loop BB16_81 Depth=1
                                        ; =>  This Loop Header: Depth=2
                                        ;       Child Loop BB16_816 Depth 3
                                        ;       Child Loop BB16_840 Depth 3
	;; [unrolled: 1-line block ×9, first 2 shown]
	s_and_saveexec_b64 s[26:27], s[4:5]
	s_cbranch_execz .LBB16_810
; %bb.809:                              ;   in Loop: Header=BB16_808 Depth=2
	s_trap 2
	ds_read_b128 v[10:13], v0
	v_ashrrev_i32_e32 v4, 31, v6
	s_waitcnt lgkmcnt(0)
	v_add_co_u32_e32 v0, vcc, v10, v36
	v_addc_co_u32_e32 v1, vcc, v11, v37, vcc
	v_add_co_u32_e32 v0, vcc, v0, v6
	v_addc_co_u32_e32 v1, vcc, v1, v4, vcc
	ds_write_b64 v0, v[0:1]
	v_add_co_u32_e32 v0, vcc, v12, v36
	v_addc_co_u32_e32 v1, vcc, v13, v37, vcc
	v_add_co_u32_e32 v0, vcc, v0, v6
	v_addc_co_u32_e32 v1, vcc, v1, v4, vcc
	v_cmp_ne_u64_e32 vcc, 0, v[12:13]
	v_accvgpr_read_b32 v13, a48
	v_cndmask_b32_e32 v1, 0, v1, vcc
	v_cndmask_b32_e32 v0, 0, v0, vcc
	ds_write_b64 v0, v[0:1]
.LBB16_810:                             ;   in Loop: Header=BB16_808 Depth=2
	s_or_b64 exec, exec, s[26:27]
	v_and_b32_e32 v0, 4, v62
	v_cmp_ne_u32_e32 vcc, 0, v0
	s_mov_b64 s[36:37], -1
	s_and_saveexec_b64 s[26:27], vcc
	s_cbranch_execz .LBB16_820
; %bb.811:                              ;   in Loop: Header=BB16_808 Depth=2
	v_add_co_u32_e32 v4, vcc, 2, v26
	v_addc_co_u32_e32 v5, vcc, 0, v27, vcc
	v_cmp_lt_u64_e32 vcc, v[38:39], v[4:5]
	v_mov_b32_e32 v0, 1
	s_and_saveexec_b64 s[36:37], vcc
	s_cbranch_execz .LBB16_831
; %bb.812:                              ;   in Loop: Header=BB16_808 Depth=2
	s_mov_b64 s[52:53], 0
	v_mov_b32_e32 v0, 0
                                        ; implicit-def: $sgpr54_sgpr55
	s_branch .LBB16_816
.LBB16_813:                             ;   in Loop: Header=BB16_816 Depth=3
	s_or_b64 exec, exec, s[62:63]
	v_mov_b32_e32 v1, 0
	s_orn2_b64 s[60:61], s[60:61], exec
.LBB16_814:                             ;   in Loop: Header=BB16_816 Depth=3
	s_or_b64 exec, exec, s[58:59]
	s_andn2_b64 vcc, s[54:55], exec
	s_and_b64 s[54:55], s[60:61], exec
	s_or_b64 s[54:55], vcc, s[54:55]
	v_mov_b32_e32 v0, v1
.LBB16_815:                             ;   in Loop: Header=BB16_816 Depth=3
	s_or_b64 exec, exec, s[56:57]
	s_waitcnt vmcnt(0) lgkmcnt(0)
	v_cmp_ge_u64_e32 vcc, v[38:39], v[4:5]
	s_xor_b64 s[56:57], s[54:55], -1
	s_or_b64 vcc, s[56:57], vcc
	s_and_b64 vcc, exec, vcc
	s_or_b64 s[52:53], vcc, s[52:53]
	s_andn2_b64 exec, exec, s[52:53]
	s_cbranch_execz .LBB16_830
.LBB16_816:                             ;   Parent Loop BB16_81 Depth=1
                                        ;     Parent Loop BB16_808 Depth=2
                                        ; =>    This Inner Loop Header: Depth=3
	s_sleep 1
	flat_load_dwordx2 v[38:39], v[28:29] glc
	v_and_b32_e32 v1, 64, v62
	v_cmp_eq_u32_e32 vcc, 0, v1
	s_andn2_b64 s[54:55], s[54:55], exec
	s_and_saveexec_b64 s[56:57], vcc
	s_cbranch_execz .LBB16_815
; %bb.817:                              ;   in Loop: Header=BB16_816 Depth=3
	v_add_u32_e32 v1, 1, v0
	v_cmp_lt_i32_e32 vcc, s73, v0
	s_mov_b64 s[60:61], -1
	s_and_saveexec_b64 s[58:59], vcc
	s_cbranch_execz .LBB16_814
; %bb.818:                              ;   in Loop: Header=BB16_816 Depth=3
	s_trap 2
	ds_read_b64 v[0:1], v0
	s_waitcnt vmcnt(0) lgkmcnt(0)
	flat_load_dword v0, v[0:1] glc
	s_waitcnt vmcnt(0) lgkmcnt(0)
	buffer_invl2
	buffer_wbinvl1_vol
	v_cmp_ne_u32_e32 vcc, 0, v0
	s_and_saveexec_b64 s[62:63], vcc
	s_cbranch_execz .LBB16_813
; %bb.819:                              ;   in Loop: Header=BB16_816 Depth=3
	v_or_b32_e32 v62, 64, v62
	s_xor_b64 s[60:61], exec, -1
	ds_write_b32 v0, v0
	s_trap 2
	s_branch .LBB16_813
.LBB16_820:                             ;   in Loop: Header=BB16_808 Depth=2
	s_or_b64 exec, exec, s[26:27]
	s_xor_b64 s[26:27], s[36:37], -1
	s_and_saveexec_b64 s[36:37], s[26:27]
	s_cbranch_execz .LBB16_832
.LBB16_821:                             ;   in Loop: Header=BB16_808 Depth=2
	v_and_b32_e32 v0, 0x100, v62
	v_cmp_ne_u32_e32 vcc, 0, v0
	v_and_b32_e32 v0, 7, v26
	s_mov_b64 s[26:27], -1
                                        ; implicit-def: $vgpr4_vgpr5
	s_and_saveexec_b64 s[52:53], vcc
	s_cbranch_execz .LBB16_825
; %bb.822:                              ;   in Loop: Header=BB16_808 Depth=2
	v_mad_u64_u32 v[14:15], s[26:27], v0, 24, v[40:41]
	flat_load_dword v1, v[14:15]
                                        ; implicit-def: $vgpr4_vgpr5
	s_waitcnt vmcnt(0) lgkmcnt(0)
	v_cmp_ne_u32_e32 vcc, 1, v1
	v_cmp_eq_u32_e64 s[26:27], 1, v1
	s_and_saveexec_b64 s[54:55], s[26:27]
	s_cbranch_execz .LBB16_824
; %bb.823:                              ;   in Loop: Header=BB16_808 Depth=2
	flat_load_dword v4, v[14:15] offset:4 glc
	s_waitcnt vmcnt(0) lgkmcnt(0)
	v_ashrrev_i32_e32 v5, 31, v4
.LBB16_824:                             ;   in Loop: Header=BB16_808 Depth=2
	s_or_b64 exec, exec, s[54:55]
	s_orn2_b64 s[26:27], vcc, exec
.LBB16_825:                             ;   in Loop: Header=BB16_808 Depth=2
	s_or_b64 exec, exec, s[52:53]
	s_and_saveexec_b64 vcc, s[26:27]
; %bb.826:                              ;   in Loop: Header=BB16_808 Depth=2
	v_mad_i64_i32 v[4:5], s[26:27], v0, v54, 0
; %bb.827:                              ;   in Loop: Header=BB16_808 Depth=2
	s_or_b64 exec, exec, vcc
	v_add_co_u32_e32 v0, vcc, v44, v4
	v_addc_co_u32_e32 v1, vcc, v45, v5, vcc
	ds_write_b64 v0, v[0:1] offset:720
	v_and_b32_e32 v0, 0x2000, v62
	v_cmp_ne_u32_e32 vcc, 0, v0
	s_and_saveexec_b64 s[26:27], vcc
	s_cbranch_execz .LBB16_829
; %bb.828:                              ;   in Loop: Header=BB16_808 Depth=2
	ds_read_b64 v[0:1], v0 offset:584
	s_waitcnt lgkmcnt(0)
	v_add_co_u32_e32 v0, vcc, 1, v0
	v_addc_co_u32_e32 v1, vcc, 0, v1, vcc
	ds_write_b64 v0, v[0:1] offset:584
.LBB16_829:                             ;   in Loop: Header=BB16_808 Depth=2
	s_or_b64 exec, exec, s[26:27]
	v_add_co_u32_e32 v26, vcc, 2, v26
	v_addc_co_u32_e32 v27, vcc, 0, v27, vcc
	s_or_b64 exec, exec, s[36:37]
	s_and_saveexec_b64 s[26:27], s[10:11]
	s_cbranch_execz .LBB16_851
	s_branch .LBB16_833
.LBB16_830:                             ;   in Loop: Header=BB16_808 Depth=2
	s_or_b64 exec, exec, s[52:53]
	v_and_b32_e32 v0, 4, v62
.LBB16_831:                             ;   in Loop: Header=BB16_808 Depth=2
	s_or_b64 exec, exec, s[36:37]
	v_cmp_eq_u32_e32 vcc, 0, v0
	s_orn2_b64 s[36:37], vcc, exec
	;;#ASMSTART
	s_wakeup
	;;#ASMEND
	s_or_b64 exec, exec, s[26:27]
	s_xor_b64 s[26:27], s[36:37], -1
	s_and_saveexec_b64 s[36:37], s[26:27]
	s_cbranch_execnz .LBB16_821
.LBB16_832:                             ;   in Loop: Header=BB16_808 Depth=2
	s_or_b64 exec, exec, s[36:37]
	s_and_saveexec_b64 s[26:27], s[10:11]
	s_cbranch_execz .LBB16_851
.LBB16_833:                             ;   in Loop: Header=BB16_808 Depth=2
	s_and_saveexec_b64 vcc, s[46:47]
	s_xor_b64 s[36:37], exec, vcc
	s_cbranch_execz .LBB16_848
; %bb.834:                              ;   in Loop: Header=BB16_808 Depth=2
	s_and_saveexec_b64 s[52:53], s[16:17]
	s_cbranch_execz .LBB16_847
; %bb.835:                              ;   in Loop: Header=BB16_808 Depth=2
	s_mov_b64 s[56:57], exec
	v_mbcnt_lo_u32_b32 v0, s56, 0
	v_mbcnt_hi_u32_b32 v0, s57, v0
	v_cmp_eq_u32_e32 vcc, 0, v0
	s_waitcnt vmcnt(0) lgkmcnt(0)
	buffer_wbinvl1_vol
	s_and_saveexec_b64 s[54:55], vcc
	s_cbranch_execz .LBB16_837
; %bb.836:                              ;   in Loop: Header=BB16_808 Depth=2
	s_bcnt1_i32_b64 vcc_lo, s[56:57]
	v_mov_b32_e32 v20, vcc_lo
	ds_add_u64 v0, v[20:21]
	s_trap 2
.LBB16_837:                             ;   in Loop: Header=BB16_808 Depth=2
	s_or_b64 exec, exec, s[54:55]
	s_trap 2
	ds_read_b64 v[0:1], v0
	v_add_co_u32_e32 v34, vcc, v34, v42
	v_addc_co_u32_e32 v35, vcc, 0, v35, vcc
	s_waitcnt lgkmcnt(0)
	v_cmp_lt_u64_e32 vcc, v[0:1], v[34:35]
	s_and_saveexec_b64 s[54:55], vcc
	s_cbranch_execz .LBB16_846
; %bb.838:                              ;   in Loop: Header=BB16_808 Depth=2
	s_mov_b32 s67, 0
	s_mov_b64 s[56:57], 0
                                        ; implicit-def: $sgpr58_sgpr59
                                        ; implicit-def: $sgpr60_sgpr61
	s_branch .LBB16_840
.LBB16_839:                             ;   in Loop: Header=BB16_840 Depth=3
	s_or_b64 exec, exec, s[64:65]
	s_and_b64 vcc, exec, vcc
	s_or_b64 s[56:57], vcc, s[56:57]
	s_andn2_b64 vcc, s[58:59], exec
	s_and_b64 s[58:59], s[60:61], exec
	s_or_b64 s[58:59], vcc, s[58:59]
	s_andn2_b64 exec, exec, s[56:57]
	s_cbranch_execz .LBB16_844
.LBB16_840:                             ;   Parent Loop BB16_81 Depth=1
                                        ;     Parent Loop BB16_808 Depth=2
                                        ; =>    This Inner Loop Header: Depth=3
	s_add_i32 s67, s67, 1
	s_cmpk_lg_i32 s67, 0x2710
	s_cselect_b64 s[62:63], -1, 0
	s_and_b64 vcc, exec, s[62:63]
                                        ; implicit-def: $sgpr64_sgpr65
	s_cbranch_vccnz .LBB16_842
; %bb.841:                              ;   in Loop: Header=BB16_840 Depth=3
	s_trap 2
	ds_read_b64 v[0:1], v0
	s_andn2_b64 s[62:63], s[62:63], exec
	s_mov_b32 s67, 0
	s_mov_b64 s[64:65], -1
	s_waitcnt lgkmcnt(0)
	flat_load_dword v0, v[0:1] glc
	s_waitcnt vmcnt(0) lgkmcnt(0)
	buffer_invl2
	buffer_wbinvl1_vol
	v_cmp_eq_u32_e32 vcc, 0, v0
	s_and_b64 vcc, vcc, exec
	s_or_b64 s[62:63], s[62:63], vcc
.LBB16_842:                             ;   in Loop: Header=BB16_840 Depth=3
	s_andn2_b64 s[60:61], s[60:61], exec
	s_and_b64 s[64:65], s[64:65], exec
	s_mov_b64 vcc, -1
	s_or_b64 s[60:61], s[60:61], s[64:65]
	s_and_saveexec_b64 s[64:65], s[62:63]
	s_cbranch_execz .LBB16_839
; %bb.843:                              ;   in Loop: Header=BB16_840 Depth=3
	s_sleep 1
	s_trap 2
	ds_read_b64 v[0:1], v0
	s_andn2_b64 s[60:61], s[60:61], exec
	s_waitcnt lgkmcnt(0)
	v_cmp_ge_u64_e32 vcc, v[0:1], v[34:35]
	s_orn2_b64 vcc, vcc, exec
	s_branch .LBB16_839
.LBB16_844:                             ;   in Loop: Header=BB16_808 Depth=2
	s_or_b64 exec, exec, s[56:57]
	s_and_saveexec_b64 vcc, s[58:59]
	s_xor_b64 vcc, exec, vcc
	s_cbranch_execz .LBB16_846
; %bb.845:                              ;   in Loop: Header=BB16_808 Depth=2
	ds_write_b32 v0, v53
	s_trap 2
.LBB16_846:                             ;   in Loop: Header=BB16_808 Depth=2
	s_or_b64 exec, exec, s[54:55]
	;;#ASMSTART
	s_wakeup
	;;#ASMEND
.LBB16_847:                             ;   in Loop: Header=BB16_808 Depth=2
	s_or_b64 exec, exec, s[52:53]
.LBB16_848:                             ;   in Loop: Header=BB16_808 Depth=2
	s_andn2_saveexec_b64 vcc, s[36:37]
	s_cbranch_execz .LBB16_850
; %bb.849:                              ;   in Loop: Header=BB16_808 Depth=2
	s_waitcnt vmcnt(0) lgkmcnt(0)
	buffer_wbinvl1_vol
	s_barrier
.LBB16_850:                             ;   in Loop: Header=BB16_808 Depth=2
	s_or_b64 exec, exec, vcc
.LBB16_851:                             ;   in Loop: Header=BB16_808 Depth=2
	s_or_b64 exec, exec, s[26:27]
	s_trap 2
	ds_read_b32 v4, v0
	v_and_b32_e32 v0, 0x4000, v62
	v_cmp_ne_u32_e32 vcc, 0, v0
	s_xor_b64 s[26:27], s[6:7], -1
	s_and_b64 vcc, s[26:27], vcc
	s_and_saveexec_b64 s[26:27], vcc
	s_cbranch_execz .LBB16_870
; %bb.852:                              ;   in Loop: Header=BB16_808 Depth=2
	s_and_saveexec_b64 vcc, s[46:47]
	s_xor_b64 s[36:37], exec, vcc
	s_cbranch_execz .LBB16_867
; %bb.853:                              ;   in Loop: Header=BB16_808 Depth=2
	s_and_saveexec_b64 s[52:53], s[16:17]
	s_cbranch_execz .LBB16_866
; %bb.854:                              ;   in Loop: Header=BB16_808 Depth=2
	s_mov_b64 s[56:57], exec
	v_mbcnt_lo_u32_b32 v0, s56, 0
	v_mbcnt_hi_u32_b32 v0, s57, v0
	v_cmp_eq_u32_e32 vcc, 0, v0
	s_waitcnt vmcnt(0) lgkmcnt(0)
	buffer_wbinvl1_vol
	s_and_saveexec_b64 s[54:55], vcc
	s_cbranch_execz .LBB16_856
; %bb.855:                              ;   in Loop: Header=BB16_808 Depth=2
	s_bcnt1_i32_b64 vcc_lo, s[56:57]
	v_mov_b32_e32 v20, vcc_lo
	ds_add_u64 v0, v[20:21]
	s_trap 2
.LBB16_856:                             ;   in Loop: Header=BB16_808 Depth=2
	s_or_b64 exec, exec, s[54:55]
	s_trap 2
	ds_read_b64 v[0:1], v0
	v_add_co_u32_e32 v34, vcc, v34, v42
	v_addc_co_u32_e32 v35, vcc, 0, v35, vcc
	s_waitcnt lgkmcnt(0)
	v_cmp_lt_u64_e32 vcc, v[0:1], v[34:35]
	s_and_saveexec_b64 s[54:55], vcc
	s_cbranch_execz .LBB16_865
; %bb.857:                              ;   in Loop: Header=BB16_808 Depth=2
	s_mov_b32 s67, 0
	s_mov_b64 s[56:57], 0
                                        ; implicit-def: $sgpr58_sgpr59
                                        ; implicit-def: $sgpr60_sgpr61
	s_branch .LBB16_859
.LBB16_858:                             ;   in Loop: Header=BB16_859 Depth=3
	s_or_b64 exec, exec, s[64:65]
	s_and_b64 vcc, exec, vcc
	s_or_b64 s[56:57], vcc, s[56:57]
	s_andn2_b64 vcc, s[58:59], exec
	s_and_b64 s[58:59], s[60:61], exec
	s_or_b64 s[58:59], vcc, s[58:59]
	s_andn2_b64 exec, exec, s[56:57]
	s_cbranch_execz .LBB16_863
.LBB16_859:                             ;   Parent Loop BB16_81 Depth=1
                                        ;     Parent Loop BB16_808 Depth=2
                                        ; =>    This Inner Loop Header: Depth=3
	s_add_i32 s67, s67, 1
	s_cmpk_lg_i32 s67, 0x2710
	s_cselect_b64 s[62:63], -1, 0
	s_and_b64 vcc, exec, s[62:63]
                                        ; implicit-def: $sgpr64_sgpr65
	s_cbranch_vccnz .LBB16_861
; %bb.860:                              ;   in Loop: Header=BB16_859 Depth=3
	s_trap 2
	ds_read_b64 v[0:1], v0
	s_andn2_b64 s[62:63], s[62:63], exec
	s_mov_b32 s67, 0
	s_mov_b64 s[64:65], -1
	s_waitcnt lgkmcnt(0)
	flat_load_dword v0, v[0:1] glc
	s_waitcnt vmcnt(0) lgkmcnt(0)
	buffer_invl2
	buffer_wbinvl1_vol
	v_cmp_eq_u32_e32 vcc, 0, v0
	s_and_b64 vcc, vcc, exec
	s_or_b64 s[62:63], s[62:63], vcc
.LBB16_861:                             ;   in Loop: Header=BB16_859 Depth=3
	s_andn2_b64 s[60:61], s[60:61], exec
	s_and_b64 s[64:65], s[64:65], exec
	s_mov_b64 vcc, -1
	s_or_b64 s[60:61], s[60:61], s[64:65]
	s_and_saveexec_b64 s[64:65], s[62:63]
	s_cbranch_execz .LBB16_858
; %bb.862:                              ;   in Loop: Header=BB16_859 Depth=3
	s_sleep 1
	s_trap 2
	ds_read_b64 v[0:1], v0
	s_andn2_b64 s[60:61], s[60:61], exec
	s_waitcnt lgkmcnt(0)
	v_cmp_ge_u64_e32 vcc, v[0:1], v[34:35]
	s_orn2_b64 vcc, vcc, exec
	s_branch .LBB16_858
.LBB16_863:                             ;   in Loop: Header=BB16_808 Depth=2
	s_or_b64 exec, exec, s[56:57]
	s_and_saveexec_b64 vcc, s[58:59]
	s_xor_b64 vcc, exec, vcc
	s_cbranch_execz .LBB16_865
; %bb.864:                              ;   in Loop: Header=BB16_808 Depth=2
	ds_write_b32 v0, v53
	s_trap 2
.LBB16_865:                             ;   in Loop: Header=BB16_808 Depth=2
	s_or_b64 exec, exec, s[54:55]
	;;#ASMSTART
	s_wakeup
	;;#ASMEND
.LBB16_866:                             ;   in Loop: Header=BB16_808 Depth=2
	s_or_b64 exec, exec, s[52:53]
.LBB16_867:                             ;   in Loop: Header=BB16_808 Depth=2
	s_andn2_saveexec_b64 vcc, s[36:37]
	s_cbranch_execz .LBB16_869
; %bb.868:                              ;   in Loop: Header=BB16_808 Depth=2
	s_waitcnt vmcnt(0) lgkmcnt(0)
	buffer_wbinvl1_vol
	s_barrier
.LBB16_869:                             ;   in Loop: Header=BB16_808 Depth=2
	s_or_b64 exec, exec, vcc
.LBB16_870:                             ;   in Loop: Header=BB16_808 Depth=2
	s_or_b64 exec, exec, s[26:27]
	s_trap 2
	ds_read_b64 v[0:1], v0
	v_sub_u32_e32 v5, v13, v6
	v_accvgpr_read_b32 v2, a50
	v_min_i32_e32 v2, v2, v5
	v_accvgpr_write_b32 a50, v2
	s_waitcnt lgkmcnt(0)
	v_readfirstlane_b32 s26, v0
	v_readfirstlane_b32 s27, v1
	s_cmp_eq_u64 s[26:27], 0
	s_cselect_b64 s[26:27], -1, 0
	s_or_b64 s[26:27], s[26:27], s[26:27]
	s_and_b64 vcc, exec, s[26:27]
	v_mov_b32_e32 v56, 0
	s_cbranch_vccnz .LBB16_886
; %bb.871:                              ;   in Loop: Header=BB16_808 Depth=2
	s_mov_b64 s[26:27], -1
	s_and_saveexec_b64 s[36:37], s[22:23]
	s_cbranch_execz .LBB16_873
; %bb.872:                              ;   in Loop: Header=BB16_808 Depth=2
	ds_read_b32 v0, v0 offset:720
	s_waitcnt lgkmcnt(0)
	v_and_b32_e32 v0, 15, v0
	v_cmp_eq_u32_e32 vcc, 0, v0
	s_orn2_b64 s[26:27], vcc, exec
.LBB16_873:                             ;   in Loop: Header=BB16_808 Depth=2
	s_or_b64 exec, exec, s[36:37]
	s_and_saveexec_b64 s[36:37], s[18:19]
	s_cbranch_execz .LBB16_875
; %bb.874:                              ;   in Loop: Header=BB16_808 Depth=2
	ds_read_b32 v0, v0 offset:784
	s_waitcnt lgkmcnt(0)
	v_and_b32_e32 v0, 15, v0
	v_cmp_eq_u32_e32 vcc, 0, v0
	s_and_b64 vcc, s[26:27], vcc
	s_andn2_b64 s[26:27], s[26:27], exec
	s_and_b64 vcc, vcc, exec
	s_or_b64 s[26:27], s[26:27], vcc
.LBB16_875:                             ;   in Loop: Header=BB16_808 Depth=2
	s_or_b64 exec, exec, s[36:37]
	v_cmp_eq_u32_e32 vcc, 0, v4
	v_accvgpr_read_b32 v0, a50
	s_xor_b64 s[26:27], s[26:27], -1
	v_cndmask_b32_e32 v56, 0, v0, vcc
	v_cndmask_b32_e64 v0, 0, 1, s[26:27]
	v_mov_b32_e32 v18, 0
	s_mov_b64 s[52:53], -1
	;;#ASMSTART
	;;#ASMEND
	v_cmp_ne_u32_e32 vcc, 0, v0
	v_mov_b32_e32 v19, v56
	v_mov_b32_e32 v48, v61
	;; [unrolled: 1-line block ×3, first 2 shown]
	s_cbranch_vccz .LBB16_898
; %bb.876:                              ;   in Loop: Header=BB16_808 Depth=2
	s_and_saveexec_b64 s[26:27], s[52:53]
	s_cbranch_execz .LBB16_911
.LBB16_877:                             ;   in Loop: Header=BB16_808 Depth=2
	v_ashrrev_i32_e32 v0, 31, v19
	v_lshrrev_b32_e32 v0, 21, v0
	v_add_u32_e32 v0, v19, v0
	v_ashrrev_i32_e32 v7, 11, v0
	v_sub_u32_e32 v0, v7, v10
	v_ashrrev_i32_e32 v1, 31, v48
	v_cmp_lt_i32_e32 vcc, 0, v0
	v_lshrrev_b32_e32 v1, 26, v1
	s_and_saveexec_b64 s[36:37], vcc
	s_cbranch_execz .LBB16_881
; %bb.878:                              ;   in Loop: Header=BB16_808 Depth=2
	s_trap 2
	ds_read_b64 v[4:5], v0
	v_add_u32_e32 v11, v48, v1
	v_and_b32_e32 v11, 0xffffffc0, v11
	v_sub_u32_e32 v11, v48, v11
	v_lshlrev_b32_e32 v10, 11, v10
	v_accvgpr_write_b32 a53, v37
	v_accvgpr_write_b32 a30, v34
	v_add3_u32 v14, v18, v11, v10
	v_accvgpr_write_b32 a52, v36
	v_accvgpr_write_b32 a31, v35
	v_accvgpr_write_b32 a23, v21
	v_ashrrev_i32_e32 v15, 31, v14
	s_mov_b64 s[52:53], 0
	s_waitcnt vmcnt(0) lgkmcnt(0)
	v_pk_mov_b32 v[16:17], v[4:5], v[4:5] op_sel:[0,1]
	v_mov_b32_e32 v36, v42
.LBB16_879:                             ;   Parent Loop BB16_81 Depth=1
                                        ;     Parent Loop BB16_808 Depth=2
                                        ; =>    This Inner Loop Header: Depth=3
	v_add_co_u32_e32 v10, vcc, v14, v16
	v_addc_co_u32_e32 v11, vcc, v15, v17, vcc
	flat_load_ubyte v12, v[10:11] glc slc
	flat_load_ubyte v13, v[10:11] offset:64 glc slc
	flat_load_ubyte v20, v[10:11] offset:128 glc slc
	;; [unrolled: 1-line block ×31, first 2 shown]
	v_add_co_u32_e32 v22, vcc, v14, v4
	v_addc_co_u32_e32 v23, vcc, v15, v5, vcc
	v_add_co_u32_e32 v16, vcc, v16, v8
	v_addc_co_u32_e32 v17, vcc, v17, v9, vcc
	v_add_co_u32_e32 v4, vcc, v4, v8
	v_sub_u32_e32 v0, v0, v36
	v_addc_co_u32_e32 v5, vcc, v5, v9, vcc
	v_cmp_gt_i32_e32 vcc, 1, v0
	s_or_b64 s[52:53], vcc, s[52:53]
	s_waitcnt vmcnt(0) lgkmcnt(0)
	flat_store_byte v[22:23], v12 glc slc
	flat_store_byte v[22:23], v13 offset:64 glc slc
	flat_store_byte v[22:23], v20 offset:128 glc slc
	;; [unrolled: 1-line block ×31, first 2 shown]
	s_andn2_b64 exec, exec, s[52:53]
	s_cbranch_execnz .LBB16_879
; %bb.880:                              ;   in Loop: Header=BB16_808 Depth=2
	s_or_b64 exec, exec, s[52:53]
	buffer_load_dword v16, off, s[0:3], s33 offset:152 ; 4-byte Folded Reload
	buffer_load_dword v17, off, s[0:3], s33 offset:156 ; 4-byte Folded Reload
	v_accvgpr_read_b32 v41, a21
	v_accvgpr_read_b32 v45, a25
	;; [unrolled: 1-line block ×3, first 2 shown]
	v_mov_b32_e32 v42, v36
	v_accvgpr_read_b32 v35, a31
	v_accvgpr_read_b32 v36, a52
	;; [unrolled: 1-line block ×11, first 2 shown]
	v_mov_b32_e32 v53, 1
	v_accvgpr_read_b32 v55, a35
	v_accvgpr_read_b32 v24, a36
	;; [unrolled: 1-line block ×12, first 2 shown]
.LBB16_881:                             ;   in Loop: Header=BB16_808 Depth=2
	s_or_b64 exec, exec, s[36:37]
	v_lshlrev_b32_e32 v4, 11, v7
	v_cmp_ne_u32_e32 vcc, v19, v4
	s_and_saveexec_b64 s[36:37], vcc
	s_cbranch_execz .LBB16_885
; %bb.882:                              ;   in Loop: Header=BB16_808 Depth=2
	v_add_u32_e32 v1, v48, v1
	v_and_b32_e32 v1, 0xffffffc0, v1
	v_sub_u32_e32 v1, v48, v1
	v_lshlrev_b32_e32 v0, 6, v0
	v_sub_u32_e32 v0, v1, v0
	v_add_u32_e32 v1, v4, v0
	v_sub_u32_e32 v0, v19, v1
	v_cmp_lt_i32_e32 vcc, 0, v0
	s_and_b64 exec, exec, vcc
	s_cbranch_execz .LBB16_885
; %bb.883:                              ;   in Loop: Header=BB16_808 Depth=2
	s_trap 2
	ds_read_b64 v[4:5], v0
	v_add_u32_e32 v14, v1, v18
	v_ashrrev_i32_e32 v15, 31, v14
	s_mov_b64 s[52:53], 0
.LBB16_884:                             ;   Parent Loop BB16_81 Depth=1
                                        ;     Parent Loop BB16_808 Depth=2
                                        ; =>    This Inner Loop Header: Depth=3
	s_waitcnt lgkmcnt(0)
	v_add_co_u32_e32 v10, vcc, v4, v14
	v_addc_co_u32_e32 v11, vcc, v5, v15, vcc
	flat_load_ubyte v1, v[10:11] glc slc
	v_add_co_u32_e32 v14, vcc, v14, v57
	v_sub_u32_e32 v0, v0, v51
	v_addc_co_u32_e32 v15, vcc, v15, v60, vcc
	v_cmp_gt_i32_e32 vcc, 1, v0
	s_or_b64 s[52:53], vcc, s[52:53]
	s_waitcnt vmcnt(0) lgkmcnt(0)
	flat_store_byte v[10:11], v1 glc slc
	s_andn2_b64 exec, exec, s[52:53]
	s_cbranch_execnz .LBB16_884
.LBB16_885:                             ;   in Loop: Header=BB16_808 Depth=2
	s_or_b64 exec, exec, s[36:37]
	s_or_b64 exec, exec, s[26:27]
	s_and_saveexec_b64 s[26:27], s[10:11]
	s_cbranch_execz .LBB16_912
	s_branch .LBB16_887
.LBB16_886:                             ;   in Loop: Header=BB16_808 Depth=2
	s_and_saveexec_b64 s[26:27], s[10:11]
	s_cbranch_execz .LBB16_912
.LBB16_887:                             ;   in Loop: Header=BB16_808 Depth=2
	s_and_saveexec_b64 vcc, s[46:47]
	s_xor_b64 s[36:37], exec, vcc
	s_cbranch_execz .LBB16_920
; %bb.888:                              ;   in Loop: Header=BB16_808 Depth=2
	s_and_saveexec_b64 s[52:53], s[16:17]
	s_cbranch_execz .LBB16_919
; %bb.889:                              ;   in Loop: Header=BB16_808 Depth=2
	s_mov_b64 s[56:57], exec
	v_mbcnt_lo_u32_b32 v0, s56, 0
	v_mbcnt_hi_u32_b32 v0, s57, v0
	v_cmp_eq_u32_e32 vcc, 0, v0
	s_waitcnt vmcnt(0) lgkmcnt(0)
	buffer_wbinvl1_vol
	s_and_saveexec_b64 s[54:55], vcc
	s_cbranch_execz .LBB16_891
; %bb.890:                              ;   in Loop: Header=BB16_808 Depth=2
	s_bcnt1_i32_b64 vcc_lo, s[56:57]
	v_mov_b32_e32 v20, vcc_lo
	ds_add_u64 v0, v[20:21]
	s_trap 2
.LBB16_891:                             ;   in Loop: Header=BB16_808 Depth=2
	s_or_b64 exec, exec, s[54:55]
	s_trap 2
	ds_read_b64 v[0:1], v0
	v_add_co_u32_e32 v34, vcc, v34, v42
	v_addc_co_u32_e32 v35, vcc, 0, v35, vcc
	s_waitcnt lgkmcnt(0)
	v_cmp_lt_u64_e32 vcc, v[0:1], v[34:35]
	s_and_saveexec_b64 s[54:55], vcc
	s_cbranch_execz .LBB16_918
; %bb.892:                              ;   in Loop: Header=BB16_808 Depth=2
	s_mov_b32 s67, 0
	s_mov_b64 s[56:57], 0
                                        ; implicit-def: $sgpr58_sgpr59
                                        ; implicit-def: $sgpr60_sgpr61
	s_branch .LBB16_894
.LBB16_893:                             ;   in Loop: Header=BB16_894 Depth=3
	s_or_b64 exec, exec, s[64:65]
	s_and_b64 vcc, exec, vcc
	s_or_b64 s[56:57], vcc, s[56:57]
	s_andn2_b64 vcc, s[58:59], exec
	s_and_b64 s[58:59], s[60:61], exec
	s_or_b64 s[58:59], vcc, s[58:59]
	s_andn2_b64 exec, exec, s[56:57]
	s_cbranch_execz .LBB16_916
.LBB16_894:                             ;   Parent Loop BB16_81 Depth=1
                                        ;     Parent Loop BB16_808 Depth=2
                                        ; =>    This Inner Loop Header: Depth=3
	s_add_i32 s67, s67, 1
	s_cmpk_lg_i32 s67, 0x2710
	s_cselect_b64 s[62:63], -1, 0
	s_and_b64 vcc, exec, s[62:63]
                                        ; implicit-def: $sgpr64_sgpr65
	s_cbranch_vccnz .LBB16_896
; %bb.895:                              ;   in Loop: Header=BB16_894 Depth=3
	s_trap 2
	ds_read_b64 v[0:1], v0
	s_andn2_b64 s[62:63], s[62:63], exec
	s_mov_b32 s67, 0
	s_mov_b64 s[64:65], -1
	s_waitcnt lgkmcnt(0)
	flat_load_dword v0, v[0:1] glc
	s_waitcnt vmcnt(0) lgkmcnt(0)
	buffer_invl2
	buffer_wbinvl1_vol
	v_cmp_eq_u32_e32 vcc, 0, v0
	s_and_b64 vcc, vcc, exec
	s_or_b64 s[62:63], s[62:63], vcc
.LBB16_896:                             ;   in Loop: Header=BB16_894 Depth=3
	s_andn2_b64 s[60:61], s[60:61], exec
	s_and_b64 s[64:65], s[64:65], exec
	s_mov_b64 vcc, -1
	s_or_b64 s[60:61], s[60:61], s[64:65]
	s_and_saveexec_b64 s[64:65], s[62:63]
	s_cbranch_execz .LBB16_893
; %bb.897:                              ;   in Loop: Header=BB16_894 Depth=3
	s_sleep 1
	s_trap 2
	ds_read_b64 v[0:1], v0
	s_andn2_b64 s[60:61], s[60:61], exec
	s_waitcnt lgkmcnt(0)
	v_cmp_ge_u64_e32 vcc, v[0:1], v[34:35]
	s_orn2_b64 vcc, vcc, exec
	s_branch .LBB16_893
.LBB16_898:                             ;   in Loop: Header=BB16_808 Depth=2
	v_ashrrev_i32_e32 v0, 31, v56
	v_lshrrev_b32_e32 v0, 20, v0
	v_add_u32_e32 v0, v56, v0
	v_ashrrev_i32_e32 v0, 12, v0
	v_sub_u32_e32 v1, v0, v43
	v_cmp_lt_i32_e32 vcc, 0, v1
	s_and_saveexec_b64 s[26:27], vcc
	s_cbranch_execz .LBB16_902
; %bb.899:                              ;   in Loop: Header=BB16_808 Depth=2
	s_trap 2
	ds_read_b64 v[4:5], v0
	v_pk_mov_b32 v[2:3], v[34:35], v[34:35] op_sel:[0,1]
	s_mov_b64 s[36:37], 0
	v_accvgpr_read_b32 v7, a49
	s_waitcnt lgkmcnt(0)
	v_pk_mov_b32 v[14:15], v[4:5], v[4:5] op_sel:[0,1]
.LBB16_900:                             ;   Parent Loop BB16_81 Depth=1
                                        ;     Parent Loop BB16_808 Depth=2
                                        ; =>    This Inner Loop Header: Depth=3
	s_waitcnt vmcnt(0)
	v_add_co_u32_e32 v30, vcc, v16, v14
	v_addc_co_u32_e32 v31, vcc, v7, v15, vcc
	global_load_dwordx4 v[10:13], v[30:31], off glc slc
	global_load_dwordx4 v[16:19], v[30:31], off offset:1024 glc slc
	global_load_dwordx4 v[22:25], v[30:31], off offset:2048 glc slc
	s_nop 0
	global_load_dwordx4 v[30:33], v[30:31], off offset:3072 glc slc
	s_nop 0
	buffer_load_dword v34, off, s[0:3], s33 offset:152 ; 4-byte Folded Reload
	buffer_load_dword v35, off, s[0:3], s33 offset:156 ; 4-byte Folded Reload
	v_sub_u32_e32 v1, v1, v42
	s_waitcnt vmcnt(1)
	v_add_co_u32_e32 v34, vcc, v34, v4
	s_waitcnt vmcnt(0)
	v_addc_co_u32_e32 v35, vcc, v7, v5, vcc
	global_store_dwordx4 v[34:35], v[10:13], off glc slc
	global_store_dwordx4 v[34:35], v[16:19], off offset:1024 glc slc
	buffer_load_dword v16, off, s[0:3], s33 offset:152 ; 4-byte Folded Reload
	s_nop 0
	buffer_load_dword v17, off, s[0:3], s33 offset:156 ; 4-byte Folded Reload
	v_add_co_u32_e32 v14, vcc, v14, v52
	v_addc_co_u32_e32 v15, vcc, v15, v50, vcc
	v_add_co_u32_e32 v4, vcc, v4, v52
	v_addc_co_u32_e32 v5, vcc, v5, v50, vcc
	v_cmp_gt_i32_e32 vcc, 1, v1
	s_or_b64 s[36:37], vcc, s[36:37]
	global_store_dwordx4 v[34:35], v[22:25], off offset:2048 glc slc
	global_store_dwordx4 v[34:35], v[30:33], off offset:3072 glc slc
	s_andn2_b64 exec, exec, s[36:37]
	s_cbranch_execnz .LBB16_900
; %bb.901:                              ;   in Loop: Header=BB16_808 Depth=2
	s_or_b64 exec, exec, s[36:37]
	v_pk_mov_b32 v[34:35], v[2:3], v[2:3] op_sel:[0,1]
	v_accvgpr_read_b32 v24, a36
	v_accvgpr_read_b32 v30, a38
	;; [unrolled: 1-line block ×7, first 2 shown]
.LBB16_902:                             ;   in Loop: Header=BB16_808 Depth=2
	s_or_b64 exec, exec, s[26:27]
	v_lshlrev_b32_e32 v0, 12, v0
	v_cmp_ne_u32_e32 vcc, v56, v0
	s_mov_b64 s[52:53], 0
	v_mov_b32_e32 v18, 0
                                        ; implicit-def: $vgpr19
                                        ; implicit-def: $vgpr48
                                        ; implicit-def: $vgpr10
	s_and_saveexec_b64 s[36:37], vcc
	s_cbranch_execz .LBB16_910
; %bb.903:                              ;   in Loop: Header=BB16_808 Depth=2
	v_lshlrev_b32_e32 v1, 6, v1
	v_accvgpr_read_b32 v2, a43
	v_sub_u32_e32 v1, v2, v1
	v_ashrrev_i32_e32 v5, 31, v1
	v_lshrrev_b32_e32 v5, 26, v5
	v_add_u32_e32 v5, v1, v5
	v_ashrrev_i32_e32 v11, 6, v5
	v_and_b32_e32 v5, 0xffffffc0, v5
	v_sub_u32_e32 v1, v1, v5
	v_sub_u32_e32 v4, v56, v0
	v_lshlrev_b32_e32 v5, 4, v1
	v_lshl_add_u32 v13, v11, 10, v5
	v_ashrrev_i32_e32 v5, 31, v4
	v_lshrrev_b32_e32 v5, 22, v5
	v_add_u32_e32 v5, v4, v5
	v_and_b32_e32 v7, 0xfffffc00, v5
	v_sub_u32_e32 v12, v4, v7
	v_ashrrev_i32_e32 v14, 10, v5
	v_cmp_lt_i32_e32 vcc, 15, v12
	v_sub_u32_e32 v10, v4, v13
	v_addc_co_u32_e64 v4, s[26:27], 0, v14, vcc
	v_sub_u32_e32 v11, v4, v11
	v_cmp_lt_i32_e64 s[26:27], 15, v10
	s_and_saveexec_b64 s[52:53], s[26:27]
	s_cbranch_execz .LBB16_907
; %bb.904:                              ;   in Loop: Header=BB16_808 Depth=2
	s_trap 2
	ds_read_b64 v[4:5], v0
	v_add_u32_e32 v14, v13, v0
	v_ashrrev_i32_e32 v15, 31, v14
	s_mov_b64 s[54:55], 0
.LBB16_905:                             ;   Parent Loop BB16_81 Depth=1
                                        ;     Parent Loop BB16_808 Depth=2
                                        ; =>    This Inner Loop Header: Depth=3
	s_waitcnt lgkmcnt(0)
	v_add_co_u32_e64 v22, s[26:27], v4, v14
	v_addc_co_u32_e64 v23, s[26:27], v5, v15, s[26:27]
	global_load_dwordx4 v[16:19], v[22:23], off glc slc
	v_add_co_u32_e64 v14, s[26:27], v14, v32
	v_sub_u32_e32 v10, v10, v55
	v_addc_co_u32_e64 v15, s[26:27], v15, v33, s[26:27]
	v_cmp_gt_i32_e64 s[26:27], 16, v10
	v_sub_u32_e32 v11, v11, v42
	s_or_b64 s[54:55], s[26:27], s[54:55]
	s_waitcnt vmcnt(0)
	global_store_dwordx4 v[22:23], v[16:19], off glc slc
	s_andn2_b64 exec, exec, s[54:55]
	s_cbranch_execnz .LBB16_905
; %bb.906:                              ;   in Loop: Header=BB16_808 Depth=2
	s_or_b64 exec, exec, s[54:55]
	buffer_load_dword v16, off, s[0:3], s33 offset:152 ; 4-byte Folded Reload
	buffer_load_dword v17, off, s[0:3], s33 offset:156 ; 4-byte Folded Reload
.LBB16_907:                             ;   in Loop: Header=BB16_808 Depth=2
	s_or_b64 exec, exec, s[52:53]
	v_and_b32_e32 v4, 15, v56
	v_cndmask_b32_e32 v19, v12, v4, vcc
	s_mov_b64 s[52:53], 0
	v_mov_b32_e32 v18, 0
	v_cmp_ne_u32_e64 s[26:27], 0, v19
                                        ; implicit-def: $vgpr48
                                        ; implicit-def: $vgpr10
	s_mov_b64 s[54:55], exec
	s_and_b64 s[26:27], s[54:55], s[26:27]
	v_accvgpr_read_b32 v13, a48
	s_mov_b64 exec, s[26:27]
	s_cbranch_execz .LBB16_909
; %bb.908:                              ;   in Loop: Header=BB16_808 Depth=2
	v_sub_u32_e32 v4, v12, v4
	v_cndmask_b32_e32 v4, 0, v4, vcc
	v_cmp_lt_i32_e32 vcc, 0, v11
	v_add3_u32 v18, v7, v0, v4
	v_cndmask_b32_e32 v0, 0, v42, vcc
	v_sub_u32_e32 v0, v0, v11
	v_lshl_add_u32 v48, v0, 6, v1
	v_ashrrev_i32_e32 v0, 31, v48
	v_lshrrev_b32_e32 v0, 26, v0
	v_add_u32_e32 v0, v48, v0
	s_mov_b64 s[52:53], exec
	v_ashrrev_i32_e32 v10, 6, v0
.LBB16_909:                             ;   in Loop: Header=BB16_808 Depth=2
	s_or_b64 exec, exec, s[54:55]
	s_and_b64 s[52:53], s[52:53], exec
.LBB16_910:                             ;   in Loop: Header=BB16_808 Depth=2
	s_or_b64 exec, exec, s[36:37]
	s_and_saveexec_b64 s[26:27], s[52:53]
	s_cbranch_execnz .LBB16_877
.LBB16_911:                             ;   in Loop: Header=BB16_808 Depth=2
	s_or_b64 exec, exec, s[26:27]
	s_and_saveexec_b64 s[26:27], s[10:11]
	s_cbranch_execnz .LBB16_887
.LBB16_912:                             ;   in Loop: Header=BB16_808 Depth=2
	s_or_b64 exec, exec, s[26:27]
	s_and_saveexec_b64 s[26:27], s[24:25]
	s_xor_b64 s[36:37], exec, s[26:27]
	s_cbranch_execz .LBB16_923
.LBB16_913:                             ;   in Loop: Header=BB16_808 Depth=2
	v_and_b32_e32 v0, 16, v62
	v_cmp_lt_i32_e32 vcc, 0, v56
	v_cmp_ne_u32_e64 s[26:27], 0, v0
	s_and_b64 vcc, s[26:27], vcc
	s_and_saveexec_b64 s[26:27], vcc
	s_cbranch_execz .LBB16_915
; %bb.914:                              ;   in Loop: Header=BB16_808 Depth=2
	s_waitcnt vmcnt(0) lgkmcnt(0)
	buffer_wbinvl1_vol
.LBB16_915:                             ;   in Loop: Header=BB16_808 Depth=2
	s_or_b64 exec, exec, s[26:27]
	s_andn2_saveexec_b64 s[26:27], s[36:37]
	s_cbranch_execz .LBB16_942
	s_branch .LBB16_924
.LBB16_916:                             ;   in Loop: Header=BB16_808 Depth=2
	s_or_b64 exec, exec, s[56:57]
	s_and_saveexec_b64 vcc, s[58:59]
	s_xor_b64 vcc, exec, vcc
	s_cbranch_execz .LBB16_918
; %bb.917:                              ;   in Loop: Header=BB16_808 Depth=2
	ds_write_b32 v0, v53
	s_trap 2
.LBB16_918:                             ;   in Loop: Header=BB16_808 Depth=2
	s_or_b64 exec, exec, s[54:55]
	;;#ASMSTART
	s_wakeup
	;;#ASMEND
.LBB16_919:                             ;   in Loop: Header=BB16_808 Depth=2
	s_or_b64 exec, exec, s[52:53]
.LBB16_920:                             ;   in Loop: Header=BB16_808 Depth=2
	s_andn2_saveexec_b64 vcc, s[36:37]
	s_cbranch_execz .LBB16_922
; %bb.921:                              ;   in Loop: Header=BB16_808 Depth=2
	s_waitcnt vmcnt(0) lgkmcnt(0)
	buffer_wbinvl1_vol
	s_barrier
.LBB16_922:                             ;   in Loop: Header=BB16_808 Depth=2
	s_or_b64 exec, exec, vcc
	s_or_b64 exec, exec, s[26:27]
	s_and_saveexec_b64 s[26:27], s[24:25]
	s_xor_b64 s[36:37], exec, s[26:27]
	s_cbranch_execnz .LBB16_913
.LBB16_923:                             ;   in Loop: Header=BB16_808 Depth=2
	s_andn2_saveexec_b64 s[26:27], s[36:37]
	s_cbranch_execz .LBB16_942
.LBB16_924:                             ;   in Loop: Header=BB16_808 Depth=2
	s_and_saveexec_b64 vcc, s[46:47]
	s_xor_b64 s[36:37], exec, vcc
	s_cbranch_execz .LBB16_939
; %bb.925:                              ;   in Loop: Header=BB16_808 Depth=2
	s_and_saveexec_b64 s[52:53], s[16:17]
	s_cbranch_execz .LBB16_938
; %bb.926:                              ;   in Loop: Header=BB16_808 Depth=2
	s_mov_b64 s[56:57], exec
	v_mbcnt_lo_u32_b32 v0, s56, 0
	v_mbcnt_hi_u32_b32 v0, s57, v0
	v_cmp_eq_u32_e32 vcc, 0, v0
	;;#ASMSTART
	s_waitcnt lgkmcnt(0) vmcnt(0)
	;;#ASMEND
	s_and_saveexec_b64 s[54:55], vcc
	s_cbranch_execz .LBB16_928
; %bb.927:                              ;   in Loop: Header=BB16_808 Depth=2
	s_bcnt1_i32_b64 vcc_lo, s[56:57]
	v_mov_b32_e32 v20, vcc_lo
	ds_add_u64 v0, v[20:21]
	s_trap 2
.LBB16_928:                             ;   in Loop: Header=BB16_808 Depth=2
	s_or_b64 exec, exec, s[54:55]
	s_trap 2
	ds_read_b64 v[0:1], v0
	v_add_co_u32_e32 v34, vcc, v34, v42
	v_addc_co_u32_e32 v35, vcc, 0, v35, vcc
	s_waitcnt lgkmcnt(0)
	v_cmp_lt_u64_e32 vcc, v[0:1], v[34:35]
	s_and_saveexec_b64 s[54:55], vcc
	s_cbranch_execz .LBB16_937
; %bb.929:                              ;   in Loop: Header=BB16_808 Depth=2
	s_mov_b32 s67, 0
	s_mov_b64 s[56:57], 0
                                        ; implicit-def: $sgpr58_sgpr59
                                        ; implicit-def: $sgpr60_sgpr61
	s_branch .LBB16_931
.LBB16_930:                             ;   in Loop: Header=BB16_931 Depth=3
	s_or_b64 exec, exec, s[64:65]
	s_and_b64 vcc, exec, vcc
	s_or_b64 s[56:57], vcc, s[56:57]
	s_andn2_b64 vcc, s[58:59], exec
	s_and_b64 s[58:59], s[60:61], exec
	s_or_b64 s[58:59], vcc, s[58:59]
	s_andn2_b64 exec, exec, s[56:57]
	s_cbranch_execz .LBB16_935
.LBB16_931:                             ;   Parent Loop BB16_81 Depth=1
                                        ;     Parent Loop BB16_808 Depth=2
                                        ; =>    This Inner Loop Header: Depth=3
	s_add_i32 s67, s67, 1
	s_cmpk_lg_i32 s67, 0x2710
	s_cselect_b64 s[62:63], -1, 0
	s_and_b64 vcc, exec, s[62:63]
                                        ; implicit-def: $sgpr64_sgpr65
	s_cbranch_vccnz .LBB16_933
; %bb.932:                              ;   in Loop: Header=BB16_931 Depth=3
	s_trap 2
	ds_read_b64 v[0:1], v0
	s_andn2_b64 s[62:63], s[62:63], exec
	s_mov_b32 s67, 0
	s_mov_b64 s[64:65], -1
	s_waitcnt vmcnt(0) lgkmcnt(0)
	flat_load_dword v0, v[0:1] glc
	s_waitcnt vmcnt(0) lgkmcnt(0)
	buffer_invl2
	buffer_wbinvl1_vol
	v_cmp_eq_u32_e32 vcc, 0, v0
	s_and_b64 vcc, vcc, exec
	s_or_b64 s[62:63], s[62:63], vcc
.LBB16_933:                             ;   in Loop: Header=BB16_931 Depth=3
	s_andn2_b64 s[60:61], s[60:61], exec
	s_and_b64 s[64:65], s[64:65], exec
	s_mov_b64 vcc, -1
	s_or_b64 s[60:61], s[60:61], s[64:65]
	s_and_saveexec_b64 s[64:65], s[62:63]
	s_cbranch_execz .LBB16_930
; %bb.934:                              ;   in Loop: Header=BB16_931 Depth=3
	s_sleep 1
	s_trap 2
	ds_read_b64 v[0:1], v0
	s_andn2_b64 s[60:61], s[60:61], exec
	s_waitcnt lgkmcnt(0)
	v_cmp_ge_u64_e32 vcc, v[0:1], v[34:35]
	s_orn2_b64 vcc, vcc, exec
	s_branch .LBB16_930
.LBB16_935:                             ;   in Loop: Header=BB16_808 Depth=2
	s_or_b64 exec, exec, s[56:57]
	s_and_saveexec_b64 vcc, s[58:59]
	s_xor_b64 vcc, exec, vcc
	s_cbranch_execz .LBB16_937
; %bb.936:                              ;   in Loop: Header=BB16_808 Depth=2
	ds_write_b32 v0, v53
	s_trap 2
.LBB16_937:                             ;   in Loop: Header=BB16_808 Depth=2
	s_or_b64 exec, exec, s[54:55]
	;;#ASMSTART
	s_wakeup
	;;#ASMEND
.LBB16_938:                             ;   in Loop: Header=BB16_808 Depth=2
	s_or_b64 exec, exec, s[52:53]
.LBB16_939:                             ;   in Loop: Header=BB16_808 Depth=2
	s_andn2_saveexec_b64 vcc, s[36:37]
	s_cbranch_execz .LBB16_941
; %bb.940:                              ;   in Loop: Header=BB16_808 Depth=2
	;;#ASMSTART
	s_waitcnt lgkmcnt(0) vmcnt(0)
	;;#ASMEND
	s_barrier
.LBB16_941:                             ;   in Loop: Header=BB16_808 Depth=2
	s_or_b64 exec, exec, vcc
.LBB16_942:                             ;   in Loop: Header=BB16_808 Depth=2
	s_or_b64 exec, exec, s[26:27]
	v_and_b32_e32 v0, 32, v62
	v_cmp_ne_u32_e32 vcc, 0, v0
	s_and_saveexec_b64 s[26:27], vcc
	s_cbranch_execz .LBB16_807
; %bb.943:                              ;   in Loop: Header=BB16_808 Depth=2
	v_add_co_u32_e32 v26, vcc, 2, v26
	v_addc_co_u32_e32 v27, vcc, 0, v27, vcc
	flat_store_dwordx2 v[28:29], v[26:27]
	s_branch .LBB16_807
.LBB16_944:                             ;   in Loop: Header=BB16_81 Depth=1
	s_or_b64 exec, exec, s[30:31]
.LBB16_945:                             ;   in Loop: Header=BB16_81 Depth=1
	s_or_b64 exec, exec, s[28:29]
	v_cmp_gt_i32_e32 vcc, 2, v0
	s_and_saveexec_b64 s[28:29], vcc
	s_cbranch_execz .LBB16_80
; %bb.946:                              ;   in Loop: Header=BB16_81 Depth=1
	v_cmp_eq_u32_e64 s[26:27], 0, v0
	s_mov_b64 s[30:31], 0
	s_branch .LBB16_948
.LBB16_947:                             ;   in Loop: Header=BB16_948 Depth=2
	s_or_b64 exec, exec, s[26:27]
	v_accvgpr_read_b32 v0, a50
	v_add_u32_e32 v6, v0, v6
	s_mov_b64 s[26:27], 0
	s_andn2_b64 exec, exec, s[30:31]
	s_cbranch_execz .LBB16_79
.LBB16_948:                             ;   Parent Loop BB16_81 Depth=1
                                        ; =>  This Loop Header: Depth=2
                                        ;       Child Loop BB16_954 Depth 3
                                        ;       Child Loop BB16_978 Depth 3
	;; [unrolled: 1-line block ×3, first 2 shown]
	v_and_b32_e32 v0, 4, v62
	s_mov_b64 s[36:37], -1
	v_cmp_ne_u32_e32 vcc, 0, v0
	s_and_saveexec_b64 s[34:35], vcc
	s_cbranch_execz .LBB16_960
; %bb.949:                              ;   in Loop: Header=BB16_948 Depth=2
	v_add_co_u32_e32 v2, vcc, 2, v26
	v_addc_co_u32_e32 v3, vcc, 0, v27, vcc
	v_cmp_lt_u64_e32 vcc, v[38:39], v[2:3]
	v_mov_b32_e32 v0, 1
	s_and_saveexec_b64 s[36:37], vcc
	s_cbranch_execz .LBB16_959
; %bb.950:                              ;   in Loop: Header=BB16_948 Depth=2
	s_mov_b64 s[52:53], 0
	v_mov_b32_e32 v0, 0
                                        ; implicit-def: $sgpr54_sgpr55
	s_branch .LBB16_954
.LBB16_951:                             ;   in Loop: Header=BB16_954 Depth=3
	s_or_b64 exec, exec, s[62:63]
	v_mov_b32_e32 v1, 0
	s_orn2_b64 s[60:61], s[60:61], exec
.LBB16_952:                             ;   in Loop: Header=BB16_954 Depth=3
	s_or_b64 exec, exec, s[58:59]
	s_andn2_b64 vcc, s[54:55], exec
	s_and_b64 s[54:55], s[60:61], exec
	s_or_b64 s[54:55], vcc, s[54:55]
	v_mov_b32_e32 v0, v1
.LBB16_953:                             ;   in Loop: Header=BB16_954 Depth=3
	s_or_b64 exec, exec, s[56:57]
	s_waitcnt vmcnt(0) lgkmcnt(0)
	v_cmp_ge_u64_e32 vcc, v[38:39], v[2:3]
	s_xor_b64 s[56:57], s[54:55], -1
	s_or_b64 vcc, s[56:57], vcc
	s_and_b64 vcc, exec, vcc
	s_or_b64 s[52:53], vcc, s[52:53]
	s_andn2_b64 exec, exec, s[52:53]
	s_cbranch_execz .LBB16_958
.LBB16_954:                             ;   Parent Loop BB16_81 Depth=1
                                        ;     Parent Loop BB16_948 Depth=2
                                        ; =>    This Inner Loop Header: Depth=3
	s_sleep 1
	flat_load_dwordx2 v[38:39], v[28:29] glc
	v_and_b32_e32 v1, 64, v62
	v_cmp_eq_u32_e32 vcc, 0, v1
	s_andn2_b64 s[54:55], s[54:55], exec
	s_and_saveexec_b64 s[56:57], vcc
	s_cbranch_execz .LBB16_953
; %bb.955:                              ;   in Loop: Header=BB16_954 Depth=3
	v_add_u32_e32 v1, 1, v0
	v_cmp_lt_i32_e32 vcc, s73, v0
	s_mov_b64 s[60:61], -1
	s_and_saveexec_b64 s[58:59], vcc
	s_cbranch_execz .LBB16_952
; %bb.956:                              ;   in Loop: Header=BB16_954 Depth=3
	s_trap 2
	ds_read_b64 v[0:1], v0
	s_waitcnt vmcnt(0) lgkmcnt(0)
	flat_load_dword v0, v[0:1] glc
	s_waitcnt vmcnt(0) lgkmcnt(0)
	buffer_invl2
	buffer_wbinvl1_vol
	v_cmp_ne_u32_e32 vcc, 0, v0
	s_and_saveexec_b64 s[62:63], vcc
	s_cbranch_execz .LBB16_951
; %bb.957:                              ;   in Loop: Header=BB16_954 Depth=3
	v_or_b32_e32 v62, 64, v62
	s_xor_b64 s[60:61], exec, -1
	ds_write_b32 v0, v0
	s_trap 2
	s_branch .LBB16_951
.LBB16_958:                             ;   in Loop: Header=BB16_948 Depth=2
	s_or_b64 exec, exec, s[52:53]
	v_and_b32_e32 v0, 4, v62
.LBB16_959:                             ;   in Loop: Header=BB16_948 Depth=2
	s_or_b64 exec, exec, s[36:37]
	v_cmp_eq_u32_e32 vcc, 0, v0
	s_orn2_b64 s[36:37], vcc, exec
	;;#ASMSTART
	s_wakeup
	;;#ASMEND
.LBB16_960:                             ;   in Loop: Header=BB16_948 Depth=2
	s_or_b64 exec, exec, s[34:35]
	s_xor_b64 s[26:27], s[26:27], -1
	s_and_b64 s[26:27], exec, s[26:27]
	s_or_b64 s[30:31], s[26:27], s[30:31]
	s_xor_b64 s[26:27], s[36:37], -1
	s_and_saveexec_b64 s[34:35], s[26:27]
	s_cbranch_execz .LBB16_970
; %bb.961:                              ;   in Loop: Header=BB16_948 Depth=2
	v_and_b32_e32 v0, 0x100, v62
	v_cmp_ne_u32_e32 vcc, 0, v0
	v_and_b32_e32 v0, 7, v26
	s_mov_b64 s[26:27], -1
                                        ; implicit-def: $vgpr2_vgpr3
	s_and_saveexec_b64 s[36:37], vcc
	s_cbranch_execz .LBB16_965
; %bb.962:                              ;   in Loop: Header=BB16_948 Depth=2
	v_mad_u64_u32 v[4:5], s[26:27], v0, 24, v[40:41]
	flat_load_dword v1, v[4:5]
                                        ; implicit-def: $vgpr2_vgpr3
	s_waitcnt vmcnt(0) lgkmcnt(0)
	v_cmp_ne_u32_e32 vcc, 1, v1
	v_cmp_eq_u32_e64 s[26:27], 1, v1
	s_and_saveexec_b64 s[52:53], s[26:27]
	s_cbranch_execz .LBB16_964
; %bb.963:                              ;   in Loop: Header=BB16_948 Depth=2
	flat_load_dword v2, v[4:5] offset:4 glc
	s_waitcnt vmcnt(0) lgkmcnt(0)
	v_ashrrev_i32_e32 v3, 31, v2
.LBB16_964:                             ;   in Loop: Header=BB16_948 Depth=2
	s_or_b64 exec, exec, s[52:53]
	s_orn2_b64 s[26:27], vcc, exec
.LBB16_965:                             ;   in Loop: Header=BB16_948 Depth=2
	s_or_b64 exec, exec, s[36:37]
	s_and_saveexec_b64 vcc, s[26:27]
; %bb.966:                              ;   in Loop: Header=BB16_948 Depth=2
	v_mad_i64_i32 v[2:3], s[26:27], v0, v54, 0
; %bb.967:                              ;   in Loop: Header=BB16_948 Depth=2
	s_or_b64 exec, exec, vcc
	v_add_co_u32_e32 v0, vcc, v44, v2
	v_addc_co_u32_e32 v1, vcc, v45, v3, vcc
	ds_write_b64 v0, v[0:1] offset:720
	v_and_b32_e32 v0, 0x2000, v62
	v_cmp_ne_u32_e32 vcc, 0, v0
	s_and_saveexec_b64 s[26:27], vcc
	s_cbranch_execz .LBB16_969
; %bb.968:                              ;   in Loop: Header=BB16_948 Depth=2
	ds_read_b64 v[0:1], v0 offset:584
	s_waitcnt lgkmcnt(0)
	v_add_co_u32_e32 v0, vcc, 1, v0
	v_addc_co_u32_e32 v1, vcc, 0, v1, vcc
	ds_write_b64 v0, v[0:1] offset:584
.LBB16_969:                             ;   in Loop: Header=BB16_948 Depth=2
	s_or_b64 exec, exec, s[26:27]
	v_add_co_u32_e32 v26, vcc, 2, v26
	v_addc_co_u32_e32 v27, vcc, 0, v27, vcc
.LBB16_970:                             ;   in Loop: Header=BB16_948 Depth=2
	s_or_b64 exec, exec, s[34:35]
	s_and_saveexec_b64 s[26:27], s[10:11]
	s_cbranch_execz .LBB16_989
; %bb.971:                              ;   in Loop: Header=BB16_948 Depth=2
	s_and_saveexec_b64 vcc, s[46:47]
	s_xor_b64 s[34:35], exec, vcc
	s_cbranch_execz .LBB16_986
; %bb.972:                              ;   in Loop: Header=BB16_948 Depth=2
	s_and_saveexec_b64 s[36:37], s[16:17]
	s_cbranch_execz .LBB16_985
; %bb.973:                              ;   in Loop: Header=BB16_948 Depth=2
	s_mov_b64 s[54:55], exec
	v_mbcnt_lo_u32_b32 v0, s54, 0
	v_mbcnt_hi_u32_b32 v0, s55, v0
	v_cmp_eq_u32_e32 vcc, 0, v0
	s_waitcnt vmcnt(0) lgkmcnt(0)
	buffer_wbinvl1_vol
	s_and_saveexec_b64 s[52:53], vcc
	s_cbranch_execz .LBB16_975
; %bb.974:                              ;   in Loop: Header=BB16_948 Depth=2
	s_bcnt1_i32_b64 vcc_lo, s[54:55]
	v_mov_b32_e32 v20, vcc_lo
	ds_add_u64 v0, v[20:21]
	s_trap 2
.LBB16_975:                             ;   in Loop: Header=BB16_948 Depth=2
	s_or_b64 exec, exec, s[52:53]
	s_trap 2
	ds_read_b64 v[0:1], v0
	v_add_co_u32_e32 v34, vcc, v34, v42
	v_addc_co_u32_e32 v35, vcc, 0, v35, vcc
	s_waitcnt lgkmcnt(0)
	v_cmp_lt_u64_e32 vcc, v[0:1], v[34:35]
	s_and_saveexec_b64 s[52:53], vcc
	s_cbranch_execz .LBB16_984
; %bb.976:                              ;   in Loop: Header=BB16_948 Depth=2
	s_mov_b32 s64, 0
	s_mov_b64 s[54:55], 0
                                        ; implicit-def: $sgpr56_sgpr57
                                        ; implicit-def: $sgpr58_sgpr59
	s_branch .LBB16_978
.LBB16_977:                             ;   in Loop: Header=BB16_978 Depth=3
	s_or_b64 exec, exec, s[62:63]
	s_and_b64 vcc, exec, vcc
	s_or_b64 s[54:55], vcc, s[54:55]
	s_andn2_b64 vcc, s[56:57], exec
	s_and_b64 s[56:57], s[58:59], exec
	s_or_b64 s[56:57], vcc, s[56:57]
	s_andn2_b64 exec, exec, s[54:55]
	s_cbranch_execz .LBB16_982
.LBB16_978:                             ;   Parent Loop BB16_81 Depth=1
                                        ;     Parent Loop BB16_948 Depth=2
                                        ; =>    This Inner Loop Header: Depth=3
	s_add_i32 s64, s64, 1
	s_cmpk_lg_i32 s64, 0x2710
	s_cselect_b64 s[60:61], -1, 0
	s_and_b64 vcc, exec, s[60:61]
                                        ; implicit-def: $sgpr62_sgpr63
	s_cbranch_vccnz .LBB16_980
; %bb.979:                              ;   in Loop: Header=BB16_978 Depth=3
	s_trap 2
	ds_read_b64 v[0:1], v0
	s_andn2_b64 s[60:61], s[60:61], exec
	s_mov_b32 s64, 0
	s_mov_b64 s[62:63], -1
	s_waitcnt lgkmcnt(0)
	flat_load_dword v0, v[0:1] glc
	s_waitcnt vmcnt(0) lgkmcnt(0)
	buffer_invl2
	buffer_wbinvl1_vol
	v_cmp_eq_u32_e32 vcc, 0, v0
	s_and_b64 vcc, vcc, exec
	s_or_b64 s[60:61], s[60:61], vcc
.LBB16_980:                             ;   in Loop: Header=BB16_978 Depth=3
	s_andn2_b64 s[58:59], s[58:59], exec
	s_and_b64 s[62:63], s[62:63], exec
	s_mov_b64 vcc, -1
	s_or_b64 s[58:59], s[58:59], s[62:63]
	s_and_saveexec_b64 s[62:63], s[60:61]
	s_cbranch_execz .LBB16_977
; %bb.981:                              ;   in Loop: Header=BB16_978 Depth=3
	s_sleep 1
	s_trap 2
	ds_read_b64 v[0:1], v0
	s_andn2_b64 s[58:59], s[58:59], exec
	s_waitcnt lgkmcnt(0)
	v_cmp_ge_u64_e32 vcc, v[0:1], v[34:35]
	s_orn2_b64 vcc, vcc, exec
	s_branch .LBB16_977
.LBB16_982:                             ;   in Loop: Header=BB16_948 Depth=2
	s_or_b64 exec, exec, s[54:55]
	s_and_saveexec_b64 vcc, s[56:57]
	s_xor_b64 vcc, exec, vcc
	s_cbranch_execz .LBB16_984
; %bb.983:                              ;   in Loop: Header=BB16_948 Depth=2
	ds_write_b32 v0, v53
	s_trap 2
.LBB16_984:                             ;   in Loop: Header=BB16_948 Depth=2
	s_or_b64 exec, exec, s[52:53]
	;;#ASMSTART
	s_wakeup
	;;#ASMEND
.LBB16_985:                             ;   in Loop: Header=BB16_948 Depth=2
	s_or_b64 exec, exec, s[36:37]
.LBB16_986:                             ;   in Loop: Header=BB16_948 Depth=2
	s_andn2_saveexec_b64 vcc, s[34:35]
	s_cbranch_execz .LBB16_988
; %bb.987:                              ;   in Loop: Header=BB16_948 Depth=2
	s_waitcnt vmcnt(0) lgkmcnt(0)
	buffer_wbinvl1_vol
	s_barrier
.LBB16_988:                             ;   in Loop: Header=BB16_948 Depth=2
	s_or_b64 exec, exec, vcc
.LBB16_989:                             ;   in Loop: Header=BB16_948 Depth=2
	s_or_b64 exec, exec, s[26:27]
	v_sub_u32_e32 v0, v13, v6
	v_accvgpr_read_b32 v1, a50
	v_min_i32_e32 v1, v1, v0
	v_accvgpr_write_b32 a50, v1
	s_and_saveexec_b64 s[26:27], s[24:25]
	s_xor_b64 s[26:27], exec, s[26:27]
	s_cbranch_execz .LBB16_993
; %bb.990:                              ;   in Loop: Header=BB16_948 Depth=2
	s_trap 2
	ds_read_b32 v0, v0
	v_accvgpr_read_b32 v1, a50
	v_cmp_lt_i32_e32 vcc, 0, v1
	v_and_b32_e32 v1, 16, v62
	s_waitcnt lgkmcnt(0)
	v_readfirstlane_b32 s34, v0
	s_cmp_eq_u32 s34, 0
	s_cselect_b64 s[34:35], -1, 0
	s_and_b64 s[34:35], vcc, s[34:35]
	v_cmp_ne_u32_e32 vcc, 0, v1
	s_and_b64 s[34:35], vcc, s[34:35]
	s_and_saveexec_b64 vcc, s[34:35]
	s_cbranch_execz .LBB16_992
; %bb.991:                              ;   in Loop: Header=BB16_948 Depth=2
	s_waitcnt vmcnt(0)
	buffer_wbinvl1_vol
.LBB16_992:                             ;   in Loop: Header=BB16_948 Depth=2
	s_or_b64 exec, exec, vcc
.LBB16_993:                             ;   in Loop: Header=BB16_948 Depth=2
	s_andn2_saveexec_b64 s[26:27], s[26:27]
	s_cbranch_execz .LBB16_1012
; %bb.994:                              ;   in Loop: Header=BB16_948 Depth=2
	s_and_saveexec_b64 vcc, s[46:47]
	s_xor_b64 s[34:35], exec, vcc
	s_cbranch_execz .LBB16_1009
; %bb.995:                              ;   in Loop: Header=BB16_948 Depth=2
	s_and_saveexec_b64 s[36:37], s[16:17]
	s_cbranch_execz .LBB16_1008
; %bb.996:                              ;   in Loop: Header=BB16_948 Depth=2
	s_mov_b64 s[54:55], exec
	v_mbcnt_lo_u32_b32 v0, s54, 0
	v_mbcnt_hi_u32_b32 v0, s55, v0
	v_cmp_eq_u32_e32 vcc, 0, v0
	;;#ASMSTART
	s_waitcnt lgkmcnt(0) vmcnt(0)
	;;#ASMEND
	s_and_saveexec_b64 s[52:53], vcc
	s_cbranch_execz .LBB16_998
; %bb.997:                              ;   in Loop: Header=BB16_948 Depth=2
	s_bcnt1_i32_b64 vcc_lo, s[54:55]
	v_mov_b32_e32 v20, vcc_lo
	ds_add_u64 v0, v[20:21]
	s_trap 2
.LBB16_998:                             ;   in Loop: Header=BB16_948 Depth=2
	s_or_b64 exec, exec, s[52:53]
	s_trap 2
	ds_read_b64 v[0:1], v0
	v_add_co_u32_e32 v34, vcc, v34, v42
	v_addc_co_u32_e32 v35, vcc, 0, v35, vcc
	s_waitcnt lgkmcnt(0)
	v_cmp_lt_u64_e32 vcc, v[0:1], v[34:35]
	s_and_saveexec_b64 s[52:53], vcc
	s_cbranch_execz .LBB16_1007
; %bb.999:                              ;   in Loop: Header=BB16_948 Depth=2
	s_mov_b32 s64, 0
	s_mov_b64 s[54:55], 0
                                        ; implicit-def: $sgpr56_sgpr57
                                        ; implicit-def: $sgpr58_sgpr59
	s_branch .LBB16_1001
.LBB16_1000:                            ;   in Loop: Header=BB16_1001 Depth=3
	s_or_b64 exec, exec, s[62:63]
	s_and_b64 vcc, exec, vcc
	s_or_b64 s[54:55], vcc, s[54:55]
	s_andn2_b64 vcc, s[56:57], exec
	s_and_b64 s[56:57], s[58:59], exec
	s_or_b64 s[56:57], vcc, s[56:57]
	s_andn2_b64 exec, exec, s[54:55]
	s_cbranch_execz .LBB16_1005
.LBB16_1001:                            ;   Parent Loop BB16_81 Depth=1
                                        ;     Parent Loop BB16_948 Depth=2
                                        ; =>    This Inner Loop Header: Depth=3
	s_add_i32 s64, s64, 1
	s_cmpk_lg_i32 s64, 0x2710
	s_cselect_b64 s[60:61], -1, 0
	s_and_b64 vcc, exec, s[60:61]
                                        ; implicit-def: $sgpr62_sgpr63
	s_cbranch_vccnz .LBB16_1003
; %bb.1002:                             ;   in Loop: Header=BB16_1001 Depth=3
	s_trap 2
	ds_read_b64 v[0:1], v0
	s_andn2_b64 s[60:61], s[60:61], exec
	s_mov_b32 s64, 0
	s_mov_b64 s[62:63], -1
	s_waitcnt vmcnt(0) lgkmcnt(0)
	flat_load_dword v0, v[0:1] glc
	s_waitcnt vmcnt(0) lgkmcnt(0)
	buffer_invl2
	buffer_wbinvl1_vol
	v_cmp_eq_u32_e32 vcc, 0, v0
	s_and_b64 vcc, vcc, exec
	s_or_b64 s[60:61], s[60:61], vcc
.LBB16_1003:                            ;   in Loop: Header=BB16_1001 Depth=3
	s_andn2_b64 s[58:59], s[58:59], exec
	s_and_b64 s[62:63], s[62:63], exec
	s_mov_b64 vcc, -1
	s_or_b64 s[58:59], s[58:59], s[62:63]
	s_and_saveexec_b64 s[62:63], s[60:61]
	s_cbranch_execz .LBB16_1000
; %bb.1004:                             ;   in Loop: Header=BB16_1001 Depth=3
	s_sleep 1
	s_trap 2
	ds_read_b64 v[0:1], v0
	s_andn2_b64 s[58:59], s[58:59], exec
	s_waitcnt lgkmcnt(0)
	v_cmp_ge_u64_e32 vcc, v[0:1], v[34:35]
	s_orn2_b64 vcc, vcc, exec
	s_branch .LBB16_1000
.LBB16_1005:                            ;   in Loop: Header=BB16_948 Depth=2
	s_or_b64 exec, exec, s[54:55]
	s_and_saveexec_b64 vcc, s[56:57]
	s_xor_b64 vcc, exec, vcc
	s_cbranch_execz .LBB16_1007
; %bb.1006:                             ;   in Loop: Header=BB16_948 Depth=2
	ds_write_b32 v0, v53
	s_trap 2
.LBB16_1007:                            ;   in Loop: Header=BB16_948 Depth=2
	s_or_b64 exec, exec, s[52:53]
	;;#ASMSTART
	s_wakeup
	;;#ASMEND
.LBB16_1008:                            ;   in Loop: Header=BB16_948 Depth=2
	s_or_b64 exec, exec, s[36:37]
.LBB16_1009:                            ;   in Loop: Header=BB16_948 Depth=2
	s_andn2_saveexec_b64 vcc, s[34:35]
	s_cbranch_execz .LBB16_1011
; %bb.1010:                             ;   in Loop: Header=BB16_948 Depth=2
	;;#ASMSTART
	s_waitcnt lgkmcnt(0) vmcnt(0)
	;;#ASMEND
	s_barrier
.LBB16_1011:                            ;   in Loop: Header=BB16_948 Depth=2
	s_or_b64 exec, exec, vcc
.LBB16_1012:                            ;   in Loop: Header=BB16_948 Depth=2
	s_or_b64 exec, exec, s[26:27]
	v_and_b32_e32 v0, 32, v62
	v_cmp_ne_u32_e32 vcc, 0, v0
	s_and_saveexec_b64 s[26:27], vcc
	s_cbranch_execz .LBB16_947
; %bb.1013:                             ;   in Loop: Header=BB16_948 Depth=2
	v_add_co_u32_e32 v26, vcc, 2, v26
	v_addc_co_u32_e32 v27, vcc, 0, v27, vcc
	flat_store_dwordx2 v[28:29], v[26:27]
	s_branch .LBB16_947
.LBB16_1014:
	s_or_b64 exec, exec, s[44:45]
	v_accvgpr_read_b32 v12, a18
	v_accvgpr_read_b32 v20, a0
	;; [unrolled: 1-line block ×3, first 2 shown]
	s_waitcnt vmcnt(0)
	v_accvgpr_read_b32 v17, a5
	v_accvgpr_read_b32 v13, a19
.LBB16_1015:
	s_or_b64 exec, exec, s[42:43]
	v_and_b32_e32 v0, 0x800, v62
	v_cmp_eq_u32_e32 vcc, 0, v0
	s_and_saveexec_b64 s[4:5], vcc
	s_cbranch_execz .LBB16_1050
; %bb.1016:
	v_and_b32_e32 v0, 48, v62
	v_cmp_ne_u32_e32 vcc, 0, v0
	s_and_saveexec_b64 s[6:7], vcc
	s_cbranch_execz .LBB16_1018
; %bb.1017:
	flat_store_dwordx2 v[12:13], v[26:27] offset:104
.LBB16_1018:
	s_or_b64 exec, exec, s[6:7]
	s_movk_i32 s6, 0x88
	v_and_b32_e32 v0, 0x88, v62
	v_cmp_eq_u32_e32 vcc, s6, v0
	s_and_saveexec_b64 s[6:7], vcc
	s_cbranch_execz .LBB16_1030
; %bb.1019:
	v_add_u32_e32 v0, 6, v26
	v_and_b32_e32 v0, 7, v0
	v_mad_u64_u32 v[0:1], s[10:11], v0, 24, v[40:41]
	v_add_co_u32_e32 v2, vcc, 8, v0
	v_addc_co_u32_e32 v3, vcc, 0, v1, vcc
	s_mov_b64 s[10:11], 0
	v_mov_b32_e32 v0, 0
	s_movk_i32 s24, 0x270e
                                        ; implicit-def: $sgpr12_sgpr13
	s_branch .LBB16_1024
.LBB16_1020:                            ;   in Loop: Header=BB16_1024 Depth=1
	s_or_b64 exec, exec, s[22:23]
	v_mov_b32_e32 v1, 0
	s_orn2_b64 s[20:21], s[20:21], exec
.LBB16_1021:                            ;   in Loop: Header=BB16_1024 Depth=1
	s_or_b64 exec, exec, s[18:19]
	s_and_b64 s[18:19], s[20:21], exec
	v_mov_b32_e32 v0, v1
.LBB16_1022:                            ;   in Loop: Header=BB16_1024 Depth=1
	s_or_b64 exec, exec, s[16:17]
	s_xor_b64 s[16:17], s[18:19], -1
	s_andn2_b64 s[12:13], s[12:13], exec
	s_and_b64 s[16:17], s[16:17], exec
	s_or_b64 s[12:13], s[12:13], s[16:17]
.LBB16_1023:                            ;   in Loop: Header=BB16_1024 Depth=1
	s_or_b64 exec, exec, s[14:15]
	s_and_b64 s[14:15], exec, s[12:13]
	s_or_b64 s[10:11], s[14:15], s[10:11]
	s_andn2_b64 exec, exec, s[10:11]
	s_cbranch_execz .LBB16_1029
.LBB16_1024:                            ; =>This Inner Loop Header: Depth=1
	flat_load_dwordx2 v[4:5], v[2:3] glc
	s_waitcnt vmcnt(0)
	s_or_b64 s[12:13], s[12:13], exec
	s_waitcnt lgkmcnt(0)
	v_cmp_ne_u64_e32 vcc, -1, v[4:5]
	s_and_saveexec_b64 s[14:15], vcc
	s_cbranch_execz .LBB16_1023
; %bb.1025:                             ;   in Loop: Header=BB16_1024 Depth=1
	v_and_b32_e32 v1, 64, v62
	v_cmp_eq_u32_e32 vcc, 0, v1
	s_mov_b64 s[18:19], 0
	s_and_saveexec_b64 s[16:17], vcc
	s_cbranch_execz .LBB16_1022
; %bb.1026:                             ;   in Loop: Header=BB16_1024 Depth=1
	v_add_u32_e32 v1, 1, v0
	v_cmp_lt_i32_e32 vcc, s24, v0
	s_mov_b64 s[20:21], -1
	s_and_saveexec_b64 s[18:19], vcc
	s_cbranch_execz .LBB16_1021
; %bb.1027:                             ;   in Loop: Header=BB16_1024 Depth=1
	s_trap 2
	ds_read_b64 v[0:1], v0
	s_waitcnt lgkmcnt(0)
	flat_load_dword v0, v[0:1] glc
	s_waitcnt vmcnt(0) lgkmcnt(0)
	buffer_invl2
	buffer_wbinvl1_vol
	v_cmp_ne_u32_e32 vcc, 0, v0
	s_and_saveexec_b64 s[22:23], vcc
	s_cbranch_execz .LBB16_1020
; %bb.1028:                             ;   in Loop: Header=BB16_1024 Depth=1
	v_or_b32_e32 v62, 64, v62
	s_xor_b64 s[20:21], exec, -1
	ds_write_b32 v0, v0
	s_trap 2
	s_branch .LBB16_1020
.LBB16_1029:
	s_or_b64 exec, exec, s[10:11]
.LBB16_1030:
	s_or_b64 exec, exec, s[6:7]
	v_and_b32_e32 v0, 0x2000, v62
	v_cmp_ne_u32_e32 vcc, 0, v0
	s_and_saveexec_b64 s[6:7], vcc
	s_cbranch_execz .LBB16_1032
; %bb.1031:
	s_trap 2
	ds_read_b64 v[0:1], v0
	v_accvgpr_read_b32 v2, a16
	v_accvgpr_read_b32 v3, a17
	s_waitcnt lgkmcnt(0)
	flat_store_dwordx2 v[2:3], v[0:1] offset:16
.LBB16_1032:
	s_or_b64 exec, exec, s[6:7]
	v_cmp_ne_u32_e32 vcc, 64, v20
	s_and_b64 exec, exec, vcc
	s_cbranch_execz .LBB16_1050
; %bb.1033:
	v_cmp_ne_u32_sdwa s[6:7], v17, v20 src0_sel:WORD_0 src1_sel:DWORD
	s_and_saveexec_b64 s[10:11], s[6:7]
	s_xor_b64 s[6:7], exec, s[10:11]
	s_cbranch_execz .LBB16_1048
; %bb.1034:
	v_and_b32_e32 v0, 63, v31
	v_cmp_eq_u32_e32 vcc, 0, v0
	s_and_saveexec_b64 s[10:11], vcc
	s_cbranch_execz .LBB16_1047
; %bb.1035:
	s_mov_b64 s[14:15], exec
	v_mbcnt_lo_u32_b32 v0, s14, 0
	v_mbcnt_hi_u32_b32 v0, s15, v0
	v_cmp_eq_u32_e32 vcc, 0, v0
	s_waitcnt vmcnt(0) lgkmcnt(0)
	buffer_wbinvl1_vol
	s_and_saveexec_b64 s[12:13], vcc
	s_cbranch_execz .LBB16_1037
; %bb.1036:
	s_bcnt1_i32_b64 s14, s[14:15]
	v_mov_b32_e32 v0, s14
	v_mov_b32_e32 v1, 0
	ds_add_u64 v0, v[0:1]
	s_trap 2
.LBB16_1037:
	s_or_b64 exec, exec, s[12:13]
	v_ashrrev_i32_e32 v0, 31, v20
	v_lshrrev_b32_e32 v0, 26, v0
	v_add_u32_e32 v0, v20, v0
	v_ashrrev_i32_e32 v0, 6, v0
	s_trap 2
	ds_read_b64 v[2:3], v0
	v_ashrrev_i32_e32 v1, 31, v0
	v_add_co_u32_e32 v0, vcc, v34, v0
	v_addc_co_u32_e32 v1, vcc, v35, v1, vcc
	s_waitcnt lgkmcnt(0)
	v_cmp_lt_u64_e32 vcc, v[2:3], v[0:1]
	s_and_saveexec_b64 s[12:13], vcc
	s_cbranch_execz .LBB16_1046
; %bb.1038:
	s_mov_b32 s26, 0
	s_mov_b64 s[14:15], 0
                                        ; implicit-def: $sgpr16_sgpr17
                                        ; implicit-def: $sgpr18_sgpr19
	s_branch .LBB16_1040
.LBB16_1039:                            ;   in Loop: Header=BB16_1040 Depth=1
	s_or_b64 exec, exec, s[24:25]
	s_and_b64 s[20:21], exec, s[22:23]
	s_or_b64 s[14:15], s[20:21], s[14:15]
	s_andn2_b64 s[16:17], s[16:17], exec
	s_and_b64 s[20:21], s[18:19], exec
	s_or_b64 s[16:17], s[16:17], s[20:21]
	s_andn2_b64 exec, exec, s[14:15]
	s_cbranch_execz .LBB16_1044
.LBB16_1040:                            ; =>This Inner Loop Header: Depth=1
	s_add_i32 s26, s26, 1
	s_cmpk_lg_i32 s26, 0x2710
	s_cselect_b64 s[20:21], -1, 0
	s_and_b64 vcc, exec, s[20:21]
                                        ; implicit-def: $sgpr24_sgpr25
	s_cbranch_vccnz .LBB16_1042
; %bb.1041:                             ;   in Loop: Header=BB16_1040 Depth=1
	s_trap 2
	ds_read_b64 v[2:3], v0
	s_andn2_b64 s[20:21], s[20:21], exec
	s_mov_b32 s26, 0
	s_mov_b64 s[24:25], -1
	s_waitcnt lgkmcnt(0)
	flat_load_dword v2, v[2:3] glc
	s_waitcnt vmcnt(0) lgkmcnt(0)
	buffer_invl2
	buffer_wbinvl1_vol
	v_cmp_eq_u32_e32 vcc, 0, v2
	s_and_b64 s[22:23], vcc, exec
	s_or_b64 s[20:21], s[20:21], s[22:23]
.LBB16_1042:                            ;   in Loop: Header=BB16_1040 Depth=1
	s_andn2_b64 s[18:19], s[18:19], exec
	s_and_b64 s[24:25], s[24:25], exec
	s_mov_b64 s[22:23], -1
	s_or_b64 s[18:19], s[18:19], s[24:25]
	s_and_saveexec_b64 s[24:25], s[20:21]
	s_cbranch_execz .LBB16_1039
; %bb.1043:                             ;   in Loop: Header=BB16_1040 Depth=1
	s_sleep 1
	s_trap 2
	ds_read_b64 v[2:3], v0
	s_andn2_b64 s[18:19], s[18:19], exec
	s_waitcnt lgkmcnt(0)
	v_cmp_ge_u64_e32 vcc, v[2:3], v[0:1]
	s_orn2_b64 s[22:23], vcc, exec
	s_branch .LBB16_1039
.LBB16_1044:
	s_or_b64 exec, exec, s[14:15]
	s_and_saveexec_b64 s[14:15], s[16:17]
	s_xor_b64 s[14:15], exec, s[14:15]
	s_cbranch_execz .LBB16_1046
; %bb.1045:
	v_mov_b32_e32 v0, 1
	ds_write_b32 v0, v0
	s_trap 2
.LBB16_1046:
	s_or_b64 exec, exec, s[12:13]
	;;#ASMSTART
	s_wakeup
	;;#ASMEND
.LBB16_1047:
	s_or_b64 exec, exec, s[10:11]
.LBB16_1048:
	s_andn2_saveexec_b64 s[6:7], s[6:7]
	s_cbranch_execz .LBB16_1050
; %bb.1049:
	s_waitcnt vmcnt(0) lgkmcnt(0)
	buffer_wbinvl1_vol
	s_barrier
.LBB16_1050:
	s_or_b64 exec, exec, s[4:5]
.LBB16_1051:
	s_andn2_saveexec_b64 s[26:27], s[40:41]
	s_cbranch_execz .LBB16_1053
; %bb.1052:
	s_getpc_b64 s[4:5]
	s_add_u32 s4, s4, __PRETTY_FUNCTION__._ZN10PrimitivesIa7FuncSumIaE12FanSymmetricILi1EELi0E11ProtoSimpleILi2ELi2ELi0ELi4ELi0ELi0EELi0ELb0ELi0ELi0ELi0EEC2EiiPKiS8_PKvPvmhhhP15ncclDevWorkCollP14ncclDevWorkP2pii@rel32@lo+4
	s_addc_u32 s5, s5, __PRETTY_FUNCTION__._ZN10PrimitivesIa7FuncSumIaE12FanSymmetricILi1EELi0E11ProtoSimpleILi2ELi2ELi0ELi4ELi0ELi0EELi0ELb0ELi0ELi0ELi0EEC2EiiPKiS8_PKvPvmhhhP15ncclDevWorkCollP14ncclDevWorkP2pii@rel32@hi+12
	v_mov_b32_e32 v0, s4
	v_mov_b32_e32 v1, s5
	s_getpc_b64 s[6:7]
	s_add_u32 s6, s6, __assert_fail@rel32@lo+4
	s_addc_u32 s7, s7, __assert_fail@rel32@hi+12
	s_swappc_b64 s[30:31], s[6:7]
	; divergent unreachable
.LBB16_1053:
	s_or_b64 exec, exec, s[26:27]
.LBB16_1054:
	s_or_b64 exec, exec, s[38:39]
	buffer_load_dword a55, off, s[0:3], s33 ; 4-byte Folded Reload
	buffer_load_dword a54, off, s[0:3], s33 offset:4 ; 4-byte Folded Reload
	buffer_load_dword a53, off, s[0:3], s33 offset:8 ; 4-byte Folded Reload
	;; [unrolled: 1-line block ×29, first 2 shown]
	s_waitcnt lgkmcnt(0)
	buffer_load_dword v47, off, s[0:3], s33 offset:120 ; 4-byte Folded Reload
	buffer_load_dword v46, off, s[0:3], s33 offset:124 ; 4-byte Folded Reload
	;; [unrolled: 1-line block ×8, first 2 shown]
	v_readlane_b32 s30, v63, 45
	v_readlane_b32 s31, v63, 46
	;; [unrolled: 1-line block ×48, first 2 shown]
	s_or_saveexec_b64 s[6:7], -1
	buffer_load_dword v63, off, s[0:3], s33 offset:160 ; 4-byte Folded Reload
	s_mov_b64 exec, s[6:7]
	s_addk_i32 s32, 0xd400
	s_mov_b32 s33, s4
	s_waitcnt vmcnt(0)
	s_setpc_b64 s[30:31]
.Lfunc_end16:
	.size	_ZN12_GLOBAL__N_17runRingIa7FuncSumIaE11ProtoSimpleILi2ELi2ELi0ELi4ELi0ELi0EELi0ELi4ELi0ELb0EEEviiP15ncclDevWorkColl, .Lfunc_end16-_ZN12_GLOBAL__N_17runRingIa7FuncSumIaE11ProtoSimpleILi2ELi2ELi0ELi4ELi0ELi0EELi0ELi4ELi0ELb0EEEviiP15ncclDevWorkColl
                                        ; -- End function
	.section	.AMDGPU.csdata,"",@progbits
; Function info:
; codeLenInByte = 37520
; NumSgprs: 83
; NumVgprs: 64
; NumAgprs: 56
; TotalNumVgprs: 120
; ScratchSize: 240
; MemoryBound: 0
	.text
	.p2align	2                               ; -- Begin function _Z46ncclDevFunc_AllGather_RING_SIMPLE_Sum_i8_0_0_4v
	.type	_Z46ncclDevFunc_AllGather_RING_SIMPLE_Sum_i8_0_0_4v,@function
_Z46ncclDevFunc_AllGather_RING_SIMPLE_Sum_i8_0_0_4v: ; @_Z46ncclDevFunc_AllGather_RING_SIMPLE_Sum_i8_0_0_4v
; %bb.0:
	s_waitcnt vmcnt(0) expcnt(0) lgkmcnt(0)
	s_mov_b32 s4, s33
	s_mov_b32 s33, s32
	s_or_saveexec_b64 s[6:7], -1
	buffer_store_dword v43, off, s[0:3], s33 offset:16 ; 4-byte Folded Spill
	s_mov_b64 exec, s[6:7]
	v_writelane_b32 v43, s4, 55
	s_addk_i32 s32, 0x800
	buffer_store_dword v40, off, s[0:3], s33 offset:12 ; 4-byte Folded Spill
	buffer_store_dword v41, off, s[0:3], s33 offset:8 ; 4-byte Folded Spill
	;; [unrolled: 1-line block ×3, first 2 shown]
	buffer_store_dword v63, off, s[0:3], s33 ; 4-byte Folded Spill
	v_writelane_b32 v43, s34, 0
	v_writelane_b32 v43, s35, 1
	;; [unrolled: 1-line block ×55, first 2 shown]
	s_trap 2
	ds_read_b32 v0, v0
	v_mov_b32_e32 v40, v31
	s_mov_b32 s79, s12
	s_mov_b64 s[80:81], s[8:9]
	s_waitcnt lgkmcnt(0)
	v_cmp_gt_i32_e32 vcc, 1, v0
	s_cbranch_vccnz .LBB17_8
; %bb.1:
	s_mov_b32 s86, 0
	v_and_b32_e32 v41, 0x3ff, v40
	s_mov_b64 s[82:83], src_shared_base
	v_mov_b32_e32 v42, 6
	s_branch .LBB17_3
.LBB17_2:                               ;   in Loop: Header=BB17_3 Depth=1
	s_or_b64 exec, exec, s[84:85]
	s_trap 2
	ds_read_b32 v0, v0
	s_add_i32 s86, s86, 1
	s_waitcnt lgkmcnt(0)
	v_cmp_lt_i32_e32 vcc, s86, v0
	s_cbranch_vccz .LBB17_8
.LBB17_3:                               ; =>This Inner Loop Header: Depth=1
	s_trap 2
	ds_read_b32 v0, v0
	s_cmp_eq_u32 s86, 0
	s_cbranch_scc1 .LBB17_6
; %bb.4:                                ;   in Loop: Header=BB17_3 Depth=1
	s_trap 2
	s_waitcnt lgkmcnt(0)
	ds_read_b32 v1, v0
	s_waitcnt lgkmcnt(0)
	v_xor_b32_e32 v1, v1, v0
	v_and_b32_e32 v1, 0xff0000, v1
	v_cmp_eq_u32_e32 vcc, 0, v1
	s_cbranch_vccnz .LBB17_6
; %bb.5:                                ;   in Loop: Header=BB17_3 Depth=1
	s_barrier
	ds_read_b32 v0, v0
.LBB17_6:                               ;   in Loop: Header=BB17_3 Depth=1
	s_waitcnt lgkmcnt(0)
	v_lshlrev_b32_sdwa v1, v42, v0 dst_sel:DWORD dst_unused:UNUSED_PAD src0_sel:DWORD src1_sel:BYTE_2
	v_cmp_lt_u32_e32 vcc, v41, v1
	s_and_saveexec_b64 s[84:85], vcc
	s_cbranch_execz .LBB17_2
; %bb.7:                                ;   in Loop: Header=BB17_3 Depth=1
	s_mov_b64 s[8:9], s[80:81]
	s_mov_b32 s12, s79
	v_mov_b32_e32 v31, v40
	v_mov_b32_e32 v0, v41
	v_mov_b32_e32 v3, s83
	s_getpc_b64 s[4:5]
	s_add_u32 s4, s4, _ZN12_GLOBAL__N_17runRingIa7FuncSumIaE11ProtoSimpleILi2ELi2ELi0ELi4ELi0ELi0EELi0ELi4ELi0ELb0EEEviiP15ncclDevWorkColl@rel32@lo+4
	s_addc_u32 s5, s5, _ZN12_GLOBAL__N_17runRingIa7FuncSumIaE11ProtoSimpleILi2ELi2ELi0ELi4ELi0ELi0EELi0ELi4ELi0ELb0EEEviiP15ncclDevWorkColl@rel32@hi+12
	s_swappc_b64 s[30:31], s[4:5]
	s_branch .LBB17_2
.LBB17_8:
	buffer_load_dword v63, off, s[0:3], s33 ; 4-byte Folded Reload
	buffer_load_dword v42, off, s[0:3], s33 offset:4 ; 4-byte Folded Reload
	buffer_load_dword v41, off, s[0:3], s33 offset:8 ; 4-byte Folded Reload
	;; [unrolled: 1-line block ×3, first 2 shown]
	v_readlane_b32 s30, v43, 53
	v_readlane_b32 s31, v43, 54
	;; [unrolled: 1-line block ×56, first 2 shown]
	s_or_saveexec_b64 s[6:7], -1
	buffer_load_dword v43, off, s[0:3], s33 offset:16 ; 4-byte Folded Reload
	s_mov_b64 exec, s[6:7]
	s_addk_i32 s32, 0xf800
	s_mov_b32 s33, s4
	s_waitcnt vmcnt(0)
	s_setpc_b64 s[30:31]
.Lfunc_end17:
	.size	_Z46ncclDevFunc_AllGather_RING_SIMPLE_Sum_i8_0_0_4v, .Lfunc_end17-_Z46ncclDevFunc_AllGather_RING_SIMPLE_Sum_i8_0_0_4v
                                        ; -- End function
	.section	.AMDGPU.csdata,"",@progbits
; Function info:
; codeLenInByte = 1260
; NumSgprs: 91
; NumVgprs: 64
; NumAgprs: 56
; TotalNumVgprs: 120
; ScratchSize: 272
; MemoryBound: 0
	.text
	.p2align	2                               ; -- Begin function _Z41ncclDevFunc_AllGather_PAT_LL_Sum_i8_0_0_4v
	.type	_Z41ncclDevFunc_AllGather_PAT_LL_Sum_i8_0_0_4v,@function
_Z41ncclDevFunc_AllGather_PAT_LL_Sum_i8_0_0_4v: ; @_Z41ncclDevFunc_AllGather_PAT_LL_Sum_i8_0_0_4v
; %bb.0:
	s_waitcnt vmcnt(0) expcnt(0) lgkmcnt(0)
	s_trap 2
	ds_read_b32 v0, v0
	s_waitcnt lgkmcnt(0)
	v_cmp_gt_i32_e32 vcc, 1, v0
	s_cbranch_vccnz .LBB18_6
; %bb.1:
	s_mov_b32 s4, 0
	s_branch .LBB18_3
.LBB18_2:                               ;   in Loop: Header=BB18_3 Depth=1
	s_add_i32 s4, s4, 1
	s_waitcnt lgkmcnt(0)
	v_cmp_lt_i32_e32 vcc, s4, v0
	s_cbranch_vccz .LBB18_6
.LBB18_3:                               ; =>This Inner Loop Header: Depth=1
	s_cmp_eq_u32 s4, 0
	s_cbranch_scc1 .LBB18_2
; %bb.4:                                ;   in Loop: Header=BB18_3 Depth=1
	s_trap 2
	ds_read_b32 v1, v0
	s_waitcnt lgkmcnt(0)
	v_xor_b32_e32 v1, v1, v1
	v_and_b32_e32 v1, 0xff0000, v1
	v_cmp_eq_u32_e32 vcc, 0, v1
	s_cbranch_vccnz .LBB18_2
; %bb.5:                                ;   in Loop: Header=BB18_3 Depth=1
	s_barrier
	s_trap 2
	ds_read_b32 v0, v0
	s_branch .LBB18_2
.LBB18_6:
	s_setpc_b64 s[30:31]
.Lfunc_end18:
	.size	_Z41ncclDevFunc_AllGather_PAT_LL_Sum_i8_0_0_4v, .Lfunc_end18-_Z41ncclDevFunc_AllGather_PAT_LL_Sum_i8_0_0_4v
                                        ; -- End function
	.section	.AMDGPU.csdata,"",@progbits
; Function info:
; codeLenInByte = 120
; NumSgprs: 36
; NumVgprs: 2
; NumAgprs: 0
; TotalNumVgprs: 2
; ScratchSize: 0
; MemoryBound: 0
	.text
	.p2align	2                               ; -- Begin function _Z45ncclDevFunc_AllGather_PAT_SIMPLE_Sum_i8_0_0_4v
	.type	_Z45ncclDevFunc_AllGather_PAT_SIMPLE_Sum_i8_0_0_4v,@function
_Z45ncclDevFunc_AllGather_PAT_SIMPLE_Sum_i8_0_0_4v: ; @_Z45ncclDevFunc_AllGather_PAT_SIMPLE_Sum_i8_0_0_4v
; %bb.0:
	s_waitcnt vmcnt(0) expcnt(0) lgkmcnt(0)
	s_or_saveexec_b64 s[4:5], -1
	buffer_store_dword v63, off, s[0:3], s32 offset:400 ; 4-byte Folded Spill
	s_mov_b64 exec, s[4:5]
	v_accvgpr_write_b32 a31, v40            ;  Reload Reuse
	buffer_store_dword v41, off, s[0:3], s32 offset:52 ; 4-byte Folded Spill
	buffer_store_dword v42, off, s[0:3], s32 offset:48 ; 4-byte Folded Spill
	;; [unrolled: 1-line block ×13, first 2 shown]
	buffer_store_dword v62, off, s[0:3], s32 ; 4-byte Folded Spill
	v_writelane_b32 v63, s34, 0
	v_writelane_b32 v63, s35, 1
	;; [unrolled: 1-line block ×41, first 2 shown]
	s_trap 2
	ds_read_b32 v0, v0
	s_waitcnt lgkmcnt(0)
	v_cmp_gt_i32_e32 vcc, 1, v0
	s_cbranch_vccnz .LBB19_389
; %bb.1:
	s_load_dword s4, s[8:9], 0x0
	v_mov_b32_e32 v16, 0
	v_and_b32_e32 v32, 0x3ff, v31
	v_and_b32_e32 v0, 63, v32
	v_accvgpr_write_b32 a1, v0
	s_waitcnt lgkmcnt(0)
	s_cmp_lt_u32 s12, s4
	s_cselect_b32 s4, 12, 18
	s_add_u32 s4, s8, s4
	s_addc_u32 s5, s9, 0
	global_load_ushort a0, v16, s[4:5]
	v_cmp_eq_u32_e64 s[14:15], 0, v0
	v_lshrrev_b32_e64 v0, 6, s32
	s_mov_b32 s30, 0
	s_movk_i32 s12, 0x80
	v_add_u32_e32 v0, 56, v0
	s_mov_b64 s[34:35], src_shared_base
	s_brev_b32 s31, 1
	v_cmp_gt_u32_e64 s[4:5], 32, v32
	v_cmp_eq_u32_e64 s[6:7], 0, v32
	v_cmp_eq_u32_e64 s[8:9], s12, v32
	v_cmp_ne_u32_e64 s[10:11], s12, v32
	v_cmp_gt_u32_e64 s[12:13], s12, v32
	v_add_u32_e32 v31, 0x58, v0
	s_movk_i32 s64, 0xe00
	s_movk_i32 s65, 0x800
	v_mov_b32_e32 v34, 1
	s_movk_i32 s34, 0x270e
	s_movk_i32 s66, 0x88
	v_mov_b32_e32 v35, 2
	v_mov_b32_e32 v48, -1
	s_movk_i32 s67, 0x1f8
	s_movk_i32 s68, 0x1000
	;; [unrolled: 1-line block ×3, first 2 shown]
	s_mov_b32 s70, s30
	s_trap 2
	s_branch .LBB19_4
.LBB19_2:                               ;   in Loop: Header=BB19_4 Depth=1
	s_or_b64 exec, exec, s[26:27]
.LBB19_3:                               ;   in Loop: Header=BB19_4 Depth=1
	s_or_b64 exec, exec, s[36:37]
	s_trap 2
	ds_read_b32 v0, v0
	s_add_i32 s70, s70, 1
	s_waitcnt lgkmcnt(0)
	v_cmp_lt_i32_e32 vcc, s70, v0
	s_cbranch_vccz .LBB19_389
.LBB19_4:                               ; =>This Loop Header: Depth=1
                                        ;     Child Loop BB19_18 Depth 2
                                        ;     Child Loop BB19_26 Depth 2
	;; [unrolled: 1-line block ×4, first 2 shown]
                                        ;       Child Loop BB19_54 Depth 3
                                        ;       Child Loop BB19_63 Depth 3
	;; [unrolled: 1-line block ×12, first 2 shown]
                                        ;     Child Loop BB19_232 Depth 2
                                        ;     Child Loop BB19_243 Depth 2
	;; [unrolled: 1-line block ×7, first 2 shown]
                                        ;       Child Loop BB19_290 Depth 3
                                        ;       Child Loop BB19_352 Depth 3
	;; [unrolled: 1-line block ×5, first 2 shown]
	s_trap 2
	ds_read_b32 v8, v0
	s_cmp_eq_u32 s70, 0
	s_cbranch_scc1 .LBB19_7
; %bb.5:                                ;   in Loop: Header=BB19_4 Depth=1
	s_trap 2
	ds_read_b32 v0, v0
	s_waitcnt lgkmcnt(0)
	v_xor_b32_e32 v0, v0, v8
	v_and_b32_e32 v0, 0xff0000, v0
	v_cmp_eq_u32_e32 vcc, 0, v0
	s_cbranch_vccnz .LBB19_7
; %bb.6:                                ;   in Loop: Header=BB19_4 Depth=1
	s_barrier
	s_trap 2
	ds_read_b32 v8, v0
.LBB19_7:                               ;   in Loop: Header=BB19_4 Depth=1
	s_waitcnt lgkmcnt(0)
	v_bfe_u32 v13, v8, 16, 8
	v_lshlrev_b32_e32 v12, 6, v13
	v_cmp_lt_u32_e32 vcc, v32, v12
	s_and_saveexec_b64 s[36:37], vcc
	s_cbranch_execz .LBB19_3
; %bb.8:                                ;   in Loop: Header=BB19_4 Depth=1
	s_trap 2
	ds_read_b64 v[4:5], v0
	ds_read_b32 v9, v0
	ds_read2_b64 v[0:3], v0 offset1:1
	v_not_b32_sdwa v10, v8 dst_sel:DWORD dst_unused:UNUSED_PAD src0_sel:BYTE_0
	v_add_u32_sdwa v6, v8, v10 dst_sel:DWORD dst_unused:UNUSED_PAD src0_sel:BYTE_1 src1_sel:DWORD
	v_ashrrev_i32_e32 v7, 31, v6
	s_waitcnt lgkmcnt(0)
	v_cmp_ne_u32_sdwa s[16:17], v8, v9 src0_sel:BYTE_0 src1_sel:DWORD
	s_waitcnt lgkmcnt(0)
	v_mul_lo_u32 v7, v2, v7
	v_mul_hi_u32 v11, v2, v6
	v_add_u32_e32 v7, v11, v7
	v_mul_lo_u32 v11, v3, v6
	v_mul_lo_u32 v6, v2, v6
	v_add_u32_e32 v7, v7, v11
	s_and_b64 vcc, exec, s[16:17]
	v_add_co_u32_e64 v6, s[16:17], v6, v0
	v_readfirstlane_b32 s72, v4
	v_readfirstlane_b32 s71, v5
	v_addc_co_u32_e64 v7, s[16:17], v7, v1, s[16:17]
	s_cbranch_vccz .LBB19_11
; %bb.9:                                ;   in Loop: Header=BB19_4 Depth=1
	v_cmp_ne_u32_sdwa s[16:17], v8, v9 src0_sel:BYTE_1 src1_sel:DWORD
	s_and_b64 vcc, exec, s[16:17]
	s_cbranch_vccz .LBB19_12
; %bb.10:                               ;   in Loop: Header=BB19_4 Depth=1
	v_add_u32_e32 v8, v9, v10
	v_ashrrev_i32_e32 v9, 31, v8
	v_mul_lo_u32 v9, v2, v9
	v_mul_hi_u32 v10, v2, v8
	v_add_u32_e32 v9, v10, v9
	v_mul_lo_u32 v10, v3, v8
	v_add_u32_e32 v9, v9, v10
	s_trap 2
	ds_read_b64 v[10:11], v0
	v_mul_lo_u32 v8, v2, v8
	v_add_co_u32_e32 v8, vcc, v8, v0
	v_addc_co_u32_e32 v9, vcc, v9, v1, vcc
	s_waitcnt lgkmcnt(0)
	v_lshrrev_b64 v[10:11], 12, v[10:11]
	s_cbranch_execz .LBB19_13
	s_branch .LBB19_14
.LBB19_11:                              ;   in Loop: Header=BB19_4 Depth=1
                                        ; implicit-def: $vgpr10_vgpr11
                                        ; implicit-def: $vgpr8_vgpr9
	s_branch .LBB19_15
.LBB19_12:                              ;   in Loop: Header=BB19_4 Depth=1
                                        ; implicit-def: $vgpr10_vgpr11
                                        ; implicit-def: $vgpr8_vgpr9
.LBB19_13:                              ;   in Loop: Header=BB19_4 Depth=1
	s_trap 2
	ds_read_b32 v2, v0
	v_pk_mov_b32 v[8:9], v[6:7], v[6:7] op_sel:[0,1]
	s_waitcnt lgkmcnt(0)
	v_lshrrev_b32_e32 v10, 1, v2
	v_pk_mov_b32 v[2:3], v[4:5], v[4:5] op_sel:[0,1]
.LBB19_14:                              ;   in Loop: Header=BB19_4 Depth=1
	s_cbranch_execnz .LBB19_16
.LBB19_15:                              ;   in Loop: Header=BB19_4 Depth=1
	s_trap 2
	ds_read_b64 v[2:3], v0
	v_pk_mov_b32 v[8:9], 0, 0
	s_waitcnt lgkmcnt(0)
	v_lshlrev_b64 v[10:11], 9, v[2:3]
	v_pk_mov_b32 v[2:3], v[0:1], v[0:1] op_sel:[0,1]
.LBB19_16:                              ;   in Loop: Header=BB19_4 Depth=1
	s_barrier
	s_and_saveexec_b64 s[16:17], s[4:5]
	s_cbranch_execz .LBB19_19
; %bb.17:                               ;   in Loop: Header=BB19_4 Depth=1
	v_mul_lo_u32 v0, v13, s64
	s_mov_b64 s[18:19], 0
	v_mov_b32_e32 v11, v32
                                        ; implicit-def: $vgpr1
.LBB19_18:                              ;   Parent Loop BB19_4 Depth=1
                                        ; =>  This Inner Loop Header: Depth=2
	v_add_u32_e32 v11, v11, v12
	v_cmp_lt_u32_e32 vcc, 31, v11
	ds_write_b32 v1, v16
	s_or_b64 s[18:19], vcc, s[18:19]
	v_add_u32_e32 v1, v1, v0
	s_andn2_b64 exec, exec, s[18:19]
	s_cbranch_execnz .LBB19_18
.LBB19_19:                              ;   in Loop: Header=BB19_4 Depth=1
	s_or_b64 exec, exec, s[16:17]
	s_and_saveexec_b64 s[16:17], s[6:7]
	s_cbranch_execz .LBB19_21
; %bb.20:                               ;   in Loop: Header=BB19_4 Depth=1
	v_mov_b32_e32 v17, v16
	ds_write_b64 v0, v[16:17]
	s_trap 2
.LBB19_21:                              ;   in Loop: Header=BB19_4 Depth=1
	s_or_b64 exec, exec, s[16:17]
	s_and_saveexec_b64 s[16:17], s[8:9]
	s_cbranch_execz .LBB19_23
; %bb.22:                               ;   in Loop: Header=BB19_4 Depth=1
	ds_write_b32 v0, v16
	s_trap 2
.LBB19_23:                              ;   in Loop: Header=BB19_4 Depth=1
	s_or_b64 exec, exec, s[16:17]
	s_waitcnt lgkmcnt(0)
	s_barrier
	s_and_saveexec_b64 s[16:17], s[10:11]
	s_xor_b64 s[38:39], exec, s[16:17]
	s_cbranch_execz .LBB19_254
; %bb.24:                               ;   in Loop: Header=BB19_4 Depth=1
	s_and_saveexec_b64 s[40:41], s[12:13]
	s_cbranch_execz .LBB19_253
; %bb.25:                               ;   in Loop: Header=BB19_4 Depth=1
	s_trap 2
	ds_read_b128 v[0:3], v0
	s_mov_b64 s[16:17], 0
.LBB19_26:                              ;   Parent Loop BB19_4 Depth=1
                                        ; =>  This Inner Loop Header: Depth=2
	v_mov_b32_e32 v17, v16
	s_trap 2
	flat_load_dword v4, v[16:17] glc
	s_waitcnt vmcnt(0) lgkmcnt(0)
	v_cmp_ne_u32_e32 vcc, 0, v4
	s_or_b64 s[16:17], vcc, s[16:17]
	s_andn2_b64 exec, exec, s[16:17]
	s_cbranch_execnz .LBB19_26
; %bb.27:                               ;   in Loop: Header=BB19_4 Depth=1
	s_or_b64 exec, exec, s[16:17]
	v_lshlrev_b32_e32 v5, 6, v4
	v_sub_u32_e32 v6, 0, v5
	v_max_i32_e32 v5, v5, v6
	v_cvt_f32_u32_e32 v6, v5
	v_sub_u32_e32 v7, 0, v5
	v_bfe_i32 v4, v4, 25, 1
	s_trap 2
	v_rcp_iflag_f32_e32 v6, v6
	v_mov_b32_e32 v44, 0x800
	v_mul_f32_e32 v6, 0x4f7ffffe, v6
	v_cvt_u32_f32_e32 v6, v6
	v_mul_lo_u32 v7, v7, v6
	v_mul_hi_u32 v7, v6, v7
	v_add_u32_e32 v6, v6, v7
	v_lshrrev_b32_e32 v6, 25, v6
	v_mul_lo_u32 v7, v6, v5
	v_sub_u32_e32 v7, 0x80, v7
	v_add_u32_e32 v8, 1, v6
	v_cmp_ge_u32_e32 vcc, v7, v5
	v_cndmask_b32_e32 v6, v6, v8, vcc
	v_sub_u32_e32 v8, v7, v5
	v_cndmask_b32_e32 v7, v7, v8, vcc
	v_add_u32_e32 v8, 1, v6
	v_cmp_ge_u32_e32 vcc, v7, v5
	v_cndmask_b32_e32 v5, v6, v8, vcc
	v_xor_b32_e32 v5, v5, v4
	v_sub_u32_e32 v26, v5, v4
	v_lshlrev_b32_e32 v28, 6, v26
	v_sub_u32_e32 v4, 0, v28
	v_max_i32_e32 v10, v28, v4
	v_cvt_f32_u32_e32 v4, v10
	v_sub_u32_e32 v7, 0, v10
	v_bfe_i32 v12, v26, 25, 1
	v_rcp_iflag_f32_e32 v6, v4
	ds_read_b64 v[4:5], v0
	v_mul_f32_e32 v6, 0x4f7ffffe, v6
	v_cvt_u32_f32_e32 v6, v6
	v_mul_lo_u32 v7, v7, v6
	v_mul_hi_u32 v7, v6, v7
	v_add_u32_e32 v13, v6, v7
	v_mul_hi_u32 v6, v32, v13
	v_mul_lo_u32 v7, v6, v10
	v_sub_u32_e32 v7, v32, v7
	v_add_u32_e32 v8, 1, v6
	v_cmp_ge_u32_e32 vcc, v7, v10
	v_cndmask_b32_e32 v6, v6, v8, vcc
	v_sub_u32_e32 v8, v7, v10
	v_cndmask_b32_e32 v7, v7, v8, vcc
	v_add_u32_e32 v8, 1, v6
	v_cmp_ge_u32_e32 vcc, v7, v10
	v_cndmask_b32_e32 v6, v6, v8, vcc
	v_xor_b32_e32 v6, v6, v12
	v_sub_u32_e32 v45, v6, v12
	v_mul_lo_u32 v11, v45, v28
	v_sub_u32_e32 v22, v32, v11
	v_cmp_gt_i32_e32 vcc, 5, v22
	v_ashrrev_i32_e32 v23, 31, v22
	s_and_saveexec_b64 s[16:17], vcc
	s_cbranch_execz .LBB19_29
; %bb.28:                               ;   in Loop: Header=BB19_4 Depth=1
	v_lshlrev_b64 v[6:7], 2, v[22:23]
	s_getpc_b64 s[18:19]
	s_add_u32 s18, s18, __const.Primitives.roles.7@rel32@lo+4
	s_addc_u32 s19, s19, __const.Primitives.roles.7@rel32@hi+12
	v_mov_b32_e32 v8, s19
	v_add_co_u32_e32 v6, vcc, s18, v6
	v_addc_co_u32_e32 v7, vcc, v7, v8, vcc
	global_load_dword v6, v[6:7], off
	s_waitcnt vmcnt(0)
	v_or_b32_e32 v44, 0x800, v6
.LBB19_29:                              ;   in Loop: Header=BB19_4 Depth=1
	s_or_b64 exec, exec, s[16:17]
	ds_read_b32 v6, v0
	v_lshlrev_b64 v[8:9], v22, 1
	v_cmp_gt_i32_e32 vcc, 32, v22
	s_trap 2
	s_waitcnt lgkmcnt(0)
	v_ashrrev_i32_e32 v7, 31, v6
	v_cmp_lt_u64_e64 s[16:17], v[8:9], v[6:7]
	s_and_b64 s[18:19], vcc, s[16:17]
	s_mov_b64 s[16:17], exec
	v_accvgpr_write_b32 a8, v22
	s_and_b64 s[18:19], s[16:17], s[18:19]
	v_accvgpr_write_b32 a9, v23
	s_mov_b64 exec, s[18:19]
	s_cbranch_execz .LBB19_31
; %bb.30:                               ;   in Loop: Header=BB19_4 Depth=1
	v_cvt_f32_u32_e32 v7, v6
	ds_read_b32 v17, v0
	v_sub_u32_e32 v14, 0, v6
	v_lshlrev_b32_e64 v24, v22, 1
	v_rcp_iflag_f32_e32 v7, v7
	s_trap 2
	s_waitcnt lgkmcnt(0)
	v_add_u32_e32 v15, v17, v24
	ds_read_b64 v[8:9], v0
	v_mul_f32_e32 v7, 0x4f7ffffe, v7
	v_cvt_u32_f32_e32 v7, v7
	v_sub_u32_e32 v24, v6, v24
	v_add_u32_e32 v17, v24, v17
	s_mov_b32 s18, s30
	v_mul_lo_u32 v14, v14, v7
	v_mul_hi_u32 v14, v7, v14
	v_add_u32_e32 v7, v7, v14
	v_mul_hi_u32 v14, v15, v7
	v_mul_lo_u32 v14, v14, v6
	v_sub_u32_e32 v14, v15, v14
	v_sub_u32_e32 v15, v14, v6
	v_cmp_ge_u32_e32 vcc, v14, v6
	v_cndmask_b32_e32 v14, v14, v15, vcc
	v_sub_u32_e32 v15, v14, v6
	v_cmp_ge_u32_e32 vcc, v14, v6
	v_cndmask_b32_e32 v14, v14, v15, vcc
	v_ashrrev_i32_e32 v15, 31, v14
	v_lshlrev_b64 v[14:15], 3, v[14:15]
	s_waitcnt lgkmcnt(0)
	v_add_co_u32_e32 v14, vcc, v8, v14
	v_addc_co_u32_e32 v15, vcc, v9, v15, vcc
	flat_load_dwordx2 v[14:15], v[14:15]
	v_mul_hi_u32 v7, v17, v7
	v_mul_lo_u32 v7, v7, v6
	v_sub_u32_e32 v7, v17, v7
	v_sub_u32_e32 v17, v7, v6
	s_mov_b32 s19, s30
	s_waitcnt vmcnt(0) lgkmcnt(0)
	v_add_co_u32_e32 v18, vcc, s67, v14
	v_addc_co_u32_e32 v19, vcc, 0, v15, vcc
	ds_write_b64 v0, v[18:19]
	flat_load_dwordx2 v[18:19], v[14:15] offset:520
	flat_load_dwordx2 v[22:23], v[14:15] offset:608
	v_cmp_ge_u32_e32 vcc, v7, v6
	v_cndmask_b32_e32 v7, v7, v17, vcc
	v_sub_u32_e32 v17, v7, v6
	v_cmp_ge_u32_e32 vcc, v7, v6
	v_cndmask_b32_e32 v6, v7, v17, vcc
	v_ashrrev_i32_e32 v7, 31, v6
	v_lshlrev_b64 v[6:7], 3, v[6:7]
	v_add_co_u32_e32 v6, vcc, v8, v6
	v_addc_co_u32_e32 v7, vcc, v9, v7, vcc
	s_waitcnt vmcnt(0) lgkmcnt(0)
	ds_write_b64 v0, v[18:19]
	flat_load_dwordx4 v[18:21], v[14:15] offset:552
	ds_write_b64 v0, v[22:23]
	v_accvgpr_read_b32 v23, a9
	v_accvgpr_read_b32 v22, a8
	s_waitcnt vmcnt(0) lgkmcnt(0)
	ds_write_b64 v0, v[18:19]
	flat_load_dwordx2 v[8:9], v[18:19] glc
	ds_write_b64 v0, v[20:21]
	flat_load_dwordx2 v[6:7], v[6:7]
	v_pk_mov_b32 v[20:21], s[18:19], s[18:19] op_sel:[0,1]
	s_waitcnt vmcnt(0) lgkmcnt(0)
	flat_load_dwordx2 v[18:19], v[6:7] offset:104
	flat_load_dword v17, v[14:15] offset:576
	s_waitcnt vmcnt(0) lgkmcnt(0)
	ds_write2_b64 v0, v[18:19], v[6:7] offset1:1
	flat_load_dwordx2 v[14:15], v[6:7] offset:96
	s_waitcnt vmcnt(0) lgkmcnt(0)
	ds_write_b64 v0, v[14:15]
	flat_load_dwordx2 v[14:15], v[6:7] offset:16
	flat_load_dwordx2 v[18:19], v[6:7] offset:56
	ds_write_b64 v0, v[20:21]
	ds_write_b64 v0, v[8:9]
	ds_write_b32 v0, v17
	s_waitcnt vmcnt(0) lgkmcnt(0)
	ds_write2_b64 v0, v[14:15], v[18:19] offset1:1
	flat_load_dwordx2 v[8:9], v[18:19] glc
	flat_load_dwordx2 v[14:15], v[6:7] offset:48
	s_waitcnt vmcnt(0) lgkmcnt(0)
	ds_write2_b64 v0, v[14:15], v[8:9] offset1:1
	flat_load_dword v6, v[6:7] offset:72
	ds_write_b64 v0, v[20:21]
	s_waitcnt vmcnt(0) lgkmcnt(0)
	ds_write_b32 v0, v6
.LBB19_31:                              ;   in Loop: Header=BB19_4 Depth=1
	s_or_b64 exec, exec, s[16:17]
	v_cmp_eq_u32_e32 vcc, 0, v22
	s_trap 2
	s_and_saveexec_b64 s[16:17], vcc
	s_cbranch_execz .LBB19_33
; %bb.32:                               ;   in Loop: Header=BB19_4 Depth=1
	ds_write2_b64 v0, v[2:3], v[0:1] offset0:14 offset1:15
	ds_write_b64 v0, v[4:5]
	s_trap 2
.LBB19_33:                              ;   in Loop: Header=BB19_4 Depth=1
	s_or_b64 exec, exec, s[16:17]
	v_accvgpr_read_b32 v0, a0
	v_cmp_ne_u32_e64 s[16:17], v28, v0
                                        ; implicit-def: $vgpr24_vgpr25
                                        ; implicit-def: $vgpr0
	s_and_saveexec_b64 s[18:19], s[16:17]
	s_xor_b64 s[18:19], exec, s[18:19]
	s_cbranch_execz .LBB19_49
; %bb.34:                               ;   in Loop: Header=BB19_4 Depth=1
	v_pk_mov_b32 v[24:25], 0, 0
	v_accvgpr_read_b32 v0, a1
	s_and_saveexec_b64 s[20:21], s[14:15]
	s_cbranch_execz .LBB19_48
; %bb.35:                               ;   in Loop: Header=BB19_4 Depth=1
	s_mov_b64 s[24:25], exec
	v_mbcnt_lo_u32_b32 v0, s24, 0
	v_mbcnt_hi_u32_b32 v0, s25, v0
	v_cmp_eq_u32_e32 vcc, 0, v0
	s_waitcnt lgkmcnt(0)
	buffer_wbinvl1_vol
	s_and_saveexec_b64 s[22:23], vcc
	s_cbranch_execz .LBB19_37
; %bb.36:                               ;   in Loop: Header=BB19_4 Depth=1
	s_bcnt1_i32_b64 s24, s[24:25]
	v_mov_b32_e32 v0, s24
	v_mov_b32_e32 v1, v16
	ds_add_u64 v0, v[0:1]
	s_trap 2
.LBB19_37:                              ;   in Loop: Header=BB19_4 Depth=1
	s_or_b64 exec, exec, s[22:23]
	s_trap 2
	ds_read_b64 v[0:1], v0
	s_waitcnt lgkmcnt(0)
	v_cmp_lt_u64_e32 vcc, 1, v[0:1]
	s_cbranch_vccnz .LBB19_47
; %bb.38:                               ;   in Loop: Header=BB19_4 Depth=1
	s_mov_b32 s44, 0
	s_mov_b64 s[22:23], 0
                                        ; implicit-def: $sgpr24_sgpr25
                                        ; implicit-def: $sgpr26_sgpr27
	s_branch .LBB19_40
.LBB19_39:                              ;   in Loop: Header=BB19_40 Depth=2
	s_or_b64 exec, exec, s[42:43]
	s_and_b64 s[28:29], exec, vcc
	s_or_b64 s[22:23], s[28:29], s[22:23]
	s_andn2_b64 s[24:25], s[24:25], exec
	s_and_b64 s[28:29], s[26:27], exec
	s_or_b64 s[24:25], s[24:25], s[28:29]
	s_andn2_b64 exec, exec, s[22:23]
	s_cbranch_execz .LBB19_44
.LBB19_40:                              ;   Parent Loop BB19_4 Depth=1
                                        ; =>  This Inner Loop Header: Depth=2
	s_add_i32 s44, s44, 1
	s_cmpk_lg_i32 s44, 0x2710
	s_cselect_b64 s[28:29], -1, 0
	s_and_b64 vcc, exec, s[28:29]
                                        ; implicit-def: $sgpr42_sgpr43
	s_cbranch_vccnz .LBB19_42
; %bb.41:                               ;   in Loop: Header=BB19_40 Depth=2
	s_trap 2
	ds_read_b64 v[0:1], v0
	s_andn2_b64 s[28:29], s[28:29], exec
	s_mov_b32 s44, 0
	s_mov_b64 s[42:43], -1
	s_waitcnt lgkmcnt(0)
	flat_load_dword v0, v[0:1] glc
	s_waitcnt vmcnt(0) lgkmcnt(0)
	buffer_invl2
	buffer_wbinvl1_vol
	v_cmp_eq_u32_e32 vcc, 0, v0
	s_and_b64 vcc, vcc, exec
	s_or_b64 s[28:29], s[28:29], vcc
.LBB19_42:                              ;   in Loop: Header=BB19_40 Depth=2
	s_andn2_b64 s[26:27], s[26:27], exec
	s_and_b64 s[42:43], s[42:43], exec
	s_mov_b64 vcc, -1
	s_or_b64 s[26:27], s[26:27], s[42:43]
	s_and_saveexec_b64 s[42:43], s[28:29]
	s_cbranch_execz .LBB19_39
; %bb.43:                               ;   in Loop: Header=BB19_40 Depth=2
	s_sleep 1
	s_trap 2
	ds_read_b64 v[0:1], v0
	s_andn2_b64 s[26:27], s[26:27], exec
	s_waitcnt lgkmcnt(0)
	v_cmp_lt_u64_e32 vcc, 1, v[0:1]
	s_orn2_b64 vcc, vcc, exec
	s_branch .LBB19_39
.LBB19_44:                              ;   in Loop: Header=BB19_4 Depth=1
	s_or_b64 exec, exec, s[22:23]
	s_and_saveexec_b64 s[22:23], s[24:25]
	s_xor_b64 s[22:23], exec, s[22:23]
	s_cbranch_execz .LBB19_46
; %bb.45:                               ;   in Loop: Header=BB19_4 Depth=1
	ds_write_b32 v0, v34
	s_trap 2
.LBB19_46:                              ;   in Loop: Header=BB19_4 Depth=1
	s_or_b64 exec, exec, s[22:23]
.LBB19_47:                              ;   in Loop: Header=BB19_4 Depth=1
	v_mov_b32_e32 v24, 2
	v_mov_b32_e32 v25, 0
	v_mov_b32_e32 v0, 0
	;;#ASMSTART
	s_wakeup
	;;#ASMEND
.LBB19_48:                              ;   in Loop: Header=BB19_4 Depth=1
	s_or_b64 exec, exec, s[20:21]
.LBB19_49:                              ;   in Loop: Header=BB19_4 Depth=1
	s_or_saveexec_b64 s[18:19], s[18:19]
	v_accvgpr_write_b32 a2, v32
	s_xor_b64 exec, exec, s[18:19]
	s_cbranch_execz .LBB19_51
; %bb.50:                               ;   in Loop: Header=BB19_4 Depth=1
	v_pk_mov_b32 v[24:25], 0, 0
	v_accvgpr_read_b32 v0, a1
	s_waitcnt lgkmcnt(0)
	buffer_wbinvl1_vol
	s_barrier
.LBB19_51:                              ;   in Loop: Header=BB19_4 Depth=1
	s_or_b64 exec, exec, s[18:19]
	v_lshrrev_b32_e32 v1, 25, v13
	v_mul_lo_u32 v2, v1, v10
	v_sub_u32_e32 v2, 0x80, v2
	v_add_u32_e32 v3, 1, v1
	v_cmp_ge_u32_e32 vcc, v2, v10
	v_cndmask_b32_e32 v1, v1, v3, vcc
	v_sub_u32_e32 v3, v2, v10
	v_cmp_eq_u32_e64 s[18:19], 0, v0
	v_lshrrev_b32_e32 v0, 26, v23
	v_cndmask_b32_e32 v2, v2, v3, vcc
	v_add_u32_e32 v0, v22, v0
	v_add_u32_e32 v3, 1, v1
	v_cmp_ge_u32_e32 vcc, v2, v10
	v_ashrrev_i32_e32 v23, 6, v0
	v_and_b32_e32 v0, 0xffffffc0, v0
	v_cndmask_b32_e32 v1, v1, v3, vcc
	v_sub_u32_e32 v27, v22, v0
	v_lshlrev_b32_e32 v0, 12, v23
	v_xor_b32_e32 v1, v1, v12
	v_lshl_add_u32 v0, v27, 4, v0
	v_lshlrev_b32_e32 v2, 12, v26
	v_sub_u32_e32 v21, v1, v12
	v_accvgpr_write_b32 a12, v0
	v_ashrrev_i32_e32 v1, 31, v0
	v_add_u32_e32 v0, 0xfffff000, v2
	v_accvgpr_write_b32 a13, v1
	v_ashrrev_i32_e32 v1, 31, v0
	v_add_co_u32_e32 v57, vcc, s68, v0
	v_lshlrev_b32_e32 v20, 10, v26
	v_addc_co_u32_e32 v58, vcc, 0, v1, vcc
	v_add_u32_e32 v0, 0xfffffc00, v20
	v_ashrrev_i32_e32 v1, 31, v0
	v_add_co_u32_e32 v30, vcc, s69, v0
	v_lshlrev_b32_e32 v4, 11, v26
	v_addc_co_u32_e32 v32, vcc, 0, v1, vcc
	v_add_u32_e32 v0, 0xfffff800, v4
	v_ashrrev_i32_e32 v1, 31, v0
	v_add_co_u32_e32 v61, vcc, s65, v0
	v_addc_co_u32_e32 v62, vcc, 0, v1, vcc
	v_subrev_u32_e32 v0, 64, v28
	v_ashrrev_i32_e32 v1, 31, v0
	v_add_co_u32_e32 v49, vcc, 64, v0
	v_addc_co_u32_e32 v42, vcc, 0, v1, vcc
	v_ashrrev_i32_e32 v1, 31, v2
	v_accvgpr_read_b32 v0, a2
	v_accvgpr_write_b32 a21, v1
	v_ashrrev_i32_e32 v17, 31, v20
	v_ashrrev_i32_e32 v1, 31, v4
	;; [unrolled: 1-line block ×3, first 2 shown]
	v_cmp_gt_i32_e64 s[20:21], 1, v27
	v_cmp_eq_u32_e64 s[22:23], v0, v11
	v_accvgpr_write_b32 a14, v2
	v_accvgpr_write_b32 a18, v4
	;; [unrolled: 1-line block ×3, first 2 shown]
	s_mov_b64 s[42:43], 0
	v_accvgpr_write_b32 a16, v20
	v_accvgpr_write_b32 a23, v17
	;; [unrolled: 1-line block ×3, first 2 shown]
	s_trap 2
                                        ; implicit-def: $vgpr36_vgpr37
	s_branch .LBB19_53
.LBB19_52:                              ;   in Loop: Header=BB19_53 Depth=2
	s_or_b64 exec, exec, s[24:25]
	s_waitcnt lgkmcnt(0)
	v_cmp_ne_u32_e32 vcc, 0, v46
	s_or_b64 s[42:43], vcc, s[42:43]
	v_add_u32_e32 v45, v45, v21
	s_andn2_b64 exec, exec, s[42:43]
	s_cbranch_execz .LBB19_223
.LBB19_53:                              ;   Parent Loop BB19_4 Depth=1
                                        ; =>  This Loop Header: Depth=2
                                        ;       Child Loop BB19_54 Depth 3
                                        ;       Child Loop BB19_63 Depth 3
	;; [unrolled: 1-line block ×12, first 2 shown]
	s_mov_b64 s[24:25], 0
	s_trap 2
.LBB19_54:                              ;   Parent Loop BB19_4 Depth=1
                                        ;     Parent Loop BB19_53 Depth=2
                                        ; =>    This Inner Loop Header: Depth=3
	ds_read_b32 v0, v0 offset:36
	s_waitcnt lgkmcnt(0)
	v_cmp_ne_u32_e32 vcc, 0, v0
	s_or_b64 s[24:25], vcc, s[24:25]
	s_andn2_b64 exec, exec, s[24:25]
	s_cbranch_execnz .LBB19_54
; %bb.55:                               ;   in Loop: Header=BB19_53 Depth=2
	s_or_b64 exec, exec, s[24:25]
	ds_read_b32 v46, v0 offset:32
	v_and_b32_e32 v0, 2, v0
	v_cmp_ne_u32_e32 vcc, 0, v0
	s_and_saveexec_b64 s[24:25], vcc
	s_xor_b64 s[24:25], exec, s[24:25]
	s_cbranch_execz .LBB19_67
; %bb.56:                               ;   in Loop: Header=BB19_53 Depth=2
	s_and_saveexec_b64 s[26:27], s[16:17]
	s_xor_b64 s[26:27], exec, s[26:27]
	s_cbranch_execz .LBB19_83
; %bb.57:                               ;   in Loop: Header=BB19_53 Depth=2
	s_and_saveexec_b64 s[28:29], s[18:19]
	s_cbranch_execz .LBB19_146
; %bb.58:                               ;   in Loop: Header=BB19_53 Depth=2
	s_mov_b64 s[46:47], exec
	v_mbcnt_lo_u32_b32 v0, s46, 0
	v_mbcnt_hi_u32_b32 v0, s47, v0
	v_cmp_eq_u32_e32 vcc, 0, v0
	s_waitcnt vmcnt(0) lgkmcnt(0)
	buffer_wbinvl1_vol
	s_and_saveexec_b64 s[44:45], vcc
	s_cbranch_execz .LBB19_60
; %bb.59:                               ;   in Loop: Header=BB19_53 Depth=2
	s_bcnt1_i32_b64 vcc_lo, s[46:47]
	v_mov_b32_e32 v0, vcc_lo
	v_mov_b32_e32 v1, v16
	ds_add_u64 v0, v[0:1]
	s_trap 2
.LBB19_60:                              ;   in Loop: Header=BB19_53 Depth=2
	s_or_b64 exec, exec, s[44:45]
	s_trap 2
	ds_read_b64 v[0:1], v0
	v_add_co_u32_e32 v24, vcc, 2, v24
	v_addc_co_u32_e32 v25, vcc, 0, v25, vcc
	s_waitcnt lgkmcnt(0)
	v_cmp_lt_u64_e32 vcc, v[0:1], v[24:25]
	s_and_saveexec_b64 s[44:45], vcc
	s_cbranch_execz .LBB19_145
; %bb.61:                               ;   in Loop: Header=BB19_53 Depth=2
	s_mov_b32 s56, 0
	s_mov_b64 s[46:47], 0
                                        ; implicit-def: $sgpr48_sgpr49
                                        ; implicit-def: $sgpr50_sgpr51
	s_branch .LBB19_63
.LBB19_62:                              ;   in Loop: Header=BB19_63 Depth=3
	s_or_b64 exec, exec, s[54:55]
	s_and_b64 vcc, exec, vcc
	s_or_b64 s[46:47], vcc, s[46:47]
	s_andn2_b64 vcc, s[48:49], exec
	s_and_b64 s[48:49], s[50:51], exec
	s_or_b64 s[48:49], vcc, s[48:49]
	s_andn2_b64 exec, exec, s[46:47]
	s_cbranch_execz .LBB19_143
.LBB19_63:                              ;   Parent Loop BB19_4 Depth=1
                                        ;     Parent Loop BB19_53 Depth=2
                                        ; =>    This Inner Loop Header: Depth=3
	s_add_i32 s56, s56, 1
	s_cmpk_lg_i32 s56, 0x2710
	s_cselect_b64 s[52:53], -1, 0
	s_and_b64 vcc, exec, s[52:53]
                                        ; implicit-def: $sgpr54_sgpr55
	s_cbranch_vccnz .LBB19_65
; %bb.64:                               ;   in Loop: Header=BB19_63 Depth=3
	s_trap 2
	ds_read_b64 v[0:1], v0
	s_andn2_b64 s[52:53], s[52:53], exec
	s_mov_b32 s56, 0
	s_mov_b64 s[54:55], -1
	s_waitcnt lgkmcnt(0)
	flat_load_dword v0, v[0:1] glc
	s_waitcnt vmcnt(0) lgkmcnt(0)
	buffer_invl2
	buffer_wbinvl1_vol
	v_cmp_eq_u32_e32 vcc, 0, v0
	s_and_b64 vcc, vcc, exec
	s_or_b64 s[52:53], s[52:53], vcc
.LBB19_65:                              ;   in Loop: Header=BB19_63 Depth=3
	s_andn2_b64 s[50:51], s[50:51], exec
	s_and_b64 s[54:55], s[54:55], exec
	s_mov_b64 vcc, -1
	s_or_b64 s[50:51], s[50:51], s[54:55]
	s_and_saveexec_b64 s[54:55], s[52:53]
	s_cbranch_execz .LBB19_62
; %bb.66:                               ;   in Loop: Header=BB19_63 Depth=3
	s_sleep 1
	s_trap 2
	ds_read_b64 v[0:1], v0
	s_andn2_b64 s[50:51], s[50:51], exec
	s_waitcnt lgkmcnt(0)
	v_cmp_ge_u64_e32 vcc, v[0:1], v[24:25]
	s_orn2_b64 vcc, vcc, exec
	s_branch .LBB19_62
.LBB19_67:                              ;   in Loop: Header=BB19_53 Depth=2
	s_andn2_saveexec_b64 s[44:45], s[24:25]
	s_cbranch_execz .LBB19_88
.LBB19_68:                              ;   in Loop: Header=BB19_53 Depth=2
	ds_read_b64 v[4:5], v0
	ds_read2_b64 v[0:3], v0 offset0:14 offset1:15
	v_and_b32_e32 v7, 36, v44
	v_cmp_ne_u32_e64 s[24:25], 0, v7
	v_pk_mov_b32 v[38:39], 0, 0
	s_waitcnt lgkmcnt(0)
	v_cmp_lt_i32_e32 vcc, -1, v4
	s_waitcnt lgkmcnt(0)
	ds_read_b32 v6, v0 offset:28
	ds_read2_b32 v[52:53], v0 offset0:5 offset1:6
	s_and_b64 s[46:47], vcc, s[24:25]
	s_and_saveexec_b64 s[24:25], s[46:47]
	s_cbranch_execz .LBB19_70
; %bb.69:                               ;   in Loop: Header=BB19_53 Depth=2
	s_trap 2
	ds_read_b64 v[36:37], v0
	v_mov_b32_e32 v39, s35
.LBB19_70:                              ;   in Loop: Header=BB19_53 Depth=2
	s_or_b64 exec, exec, s[24:25]
	v_and_b32_e32 v4, 24, v44
	v_cmp_lt_i32_e32 vcc, -1, v5
	v_cmp_ne_u32_e64 s[24:25], 0, v4
	s_and_b64 s[48:49], vcc, s[24:25]
	s_and_saveexec_b64 s[24:25], s[48:49]
	s_cbranch_execz .LBB19_72
; %bb.71:                               ;   in Loop: Header=BB19_53 Depth=2
	s_trap 2
	s_waitcnt lgkmcnt(0)
	ds_read_b64 v[36:37], v0
	v_mov_b32_e32 v39, s35
.LBB19_72:                              ;   in Loop: Header=BB19_53 Depth=2
	s_or_b64 exec, exec, s[24:25]
	v_and_b32_e32 v4, 4, v44
	v_cmp_ne_u32_e32 vcc, 0, v4
	s_waitcnt lgkmcnt(0)
	v_max_i32_e32 v59, 0, v6
	s_and_b64 s[26:27], s[46:47], vcc
	s_and_saveexec_b64 s[24:25], s[26:27]
	s_cbranch_execz .LBB19_96
; %bb.73:                               ;   in Loop: Header=BB19_53 Depth=2
	flat_load_dwordx2 v[4:5], v[38:39] offset:24
	flat_load_dword v10, v[38:39] offset:64
	ds_read2_b32 v[8:9], v0 offset0:2 offset1:4
	s_waitcnt lgkmcnt(0)
	v_add_co_u32_e32 v6, vcc, 1, v36
	v_addc_co_u32_e32 v7, vcc, 0, v37, vcc
	v_add_u32_e32 v9, v36, v9
	v_and_b32_e32 v9, 7, v9
	v_ashrrev_i32_e32 v11, 31, v8
	s_mov_b64 s[26:27], 0
                                        ; implicit-def: $sgpr52_sgpr53
                                        ; implicit-def: $sgpr50_sgpr51
	s_waitcnt vmcnt(0)
	v_mad_i64_i32 v[4:5], s[28:29], v9, v10, v[4:5]
	v_add_co_u32_e32 v4, vcc, v4, v8
	v_addc_co_u32_e32 v5, vcc, v5, v11, vcc
	v_mov_b32_e32 v8, 0
	ds_write_b64 v0, v[4:5] offset:584
                                        ; implicit-def: $sgpr28_sgpr29
	s_branch .LBB19_78
.LBB19_74:                              ;   in Loop: Header=BB19_78 Depth=3
	s_or_b64 exec, exec, s[62:63]
	v_mov_b32_e32 v4, 0
	s_orn2_b64 s[60:61], s[60:61], exec
.LBB19_75:                              ;   in Loop: Header=BB19_78 Depth=3
	s_or_b64 exec, exec, s[58:59]
	s_and_b64 s[58:59], s[60:61], exec
	v_mov_b32_e32 v8, v4
.LBB19_76:                              ;   in Loop: Header=BB19_78 Depth=3
	s_or_b64 exec, exec, s[56:57]
	s_xor_b64 vcc, s[58:59], -1
	s_andn2_b64 s[52:53], s[52:53], exec
	s_and_b64 vcc, vcc, exec
	s_andn2_b64 s[50:51], s[50:51], exec
	s_or_b64 s[52:53], s[52:53], vcc
                                        ; implicit-def: $vgpr4_vgpr5
.LBB19_77:                              ;   in Loop: Header=BB19_78 Depth=3
	s_or_b64 exec, exec, s[54:55]
	s_and_b64 vcc, exec, s[52:53]
	s_or_b64 s[26:27], vcc, s[26:27]
	s_andn2_b64 s[28:29], s[28:29], exec
	s_and_b64 vcc, s[50:51], exec
	s_or_b64 s[28:29], s[28:29], vcc
	s_andn2_b64 exec, exec, s[26:27]
	s_cbranch_execz .LBB19_89
.LBB19_78:                              ;   Parent Loop BB19_4 Depth=1
                                        ;     Parent Loop BB19_53 Depth=2
                                        ; =>    This Inner Loop Header: Depth=3
	flat_load_dwordx2 v[10:11], v[38:39] offset:48
	ds_read_b32 v4, v0 offset:16
	s_or_b64 s[50:51], s[50:51], exec
	s_or_b64 s[52:53], s[52:53], exec
	s_waitcnt lgkmcnt(0)
	v_ashrrev_i32_e32 v5, 31, v4
	v_add_co_u32_e32 v12, vcc, v6, v4
	v_addc_co_u32_e32 v13, vcc, v7, v5, vcc
	s_waitcnt vmcnt(0)
	v_cmp_lt_u64_e32 vcc, v[10:11], v[12:13]
	s_and_saveexec_b64 s[54:55], vcc
	s_cbranch_execz .LBB19_77
; %bb.79:                               ;   in Loop: Header=BB19_78 Depth=3
	flat_load_dwordx2 v[4:5], v[38:39] offset:40
	v_and_b32_e32 v9, 64, v44
	v_cmp_eq_u32_e32 vcc, 0, v9
	s_mov_b64 s[58:59], 0
	s_waitcnt vmcnt(0) lgkmcnt(0)
	flat_load_dwordx2 v[4:5], v[4:5] glc
	s_waitcnt vmcnt(0) lgkmcnt(0)
	flat_store_dwordx2 v[38:39], v[4:5] offset:48
	s_and_saveexec_b64 s[56:57], vcc
	s_cbranch_execz .LBB19_76
; %bb.80:                               ;   in Loop: Header=BB19_78 Depth=3
	v_add_u32_e32 v4, 1, v8
	v_cmp_lt_i32_e32 vcc, s34, v8
	s_mov_b64 s[60:61], -1
	s_and_saveexec_b64 s[58:59], vcc
	s_cbranch_execz .LBB19_75
; %bb.81:                               ;   in Loop: Header=BB19_78 Depth=3
	s_trap 2
	ds_read_b64 v[4:5], v0
	s_waitcnt vmcnt(0) lgkmcnt(0)
	flat_load_dword v4, v[4:5] glc
	s_waitcnt vmcnt(0) lgkmcnt(0)
	buffer_invl2
	buffer_wbinvl1_vol
	v_cmp_ne_u32_e32 vcc, 0, v4
	s_and_saveexec_b64 s[62:63], vcc
	s_cbranch_execz .LBB19_74
; %bb.82:                               ;   in Loop: Header=BB19_78 Depth=3
	v_or_b32_e32 v44, 64, v44
	s_xor_b64 s[60:61], exec, -1
	ds_write_b32 v0, v4
	s_trap 2
	s_branch .LBB19_74
.LBB19_83:                              ;   in Loop: Header=BB19_53 Depth=2
	s_andn2_saveexec_b64 s[26:27], s[26:27]
	s_cbranch_execz .LBB19_147
.LBB19_84:                              ;   in Loop: Header=BB19_53 Depth=2
	s_waitcnt vmcnt(0) lgkmcnt(0)
	buffer_wbinvl1_vol
	s_barrier
	s_or_b64 exec, exec, s[26:27]
	s_and_saveexec_b64 s[26:27], s[16:17]
	s_xor_b64 s[26:27], exec, s[26:27]
	s_cbranch_execnz .LBB19_148
.LBB19_85:                              ;   in Loop: Header=BB19_53 Depth=2
	s_andn2_saveexec_b64 s[26:27], s[26:27]
	s_cbranch_execz .LBB19_87
.LBB19_86:                              ;   in Loop: Header=BB19_53 Depth=2
	s_waitcnt vmcnt(0) lgkmcnt(0)
	buffer_wbinvl1_vol
	s_barrier
.LBB19_87:                              ;   in Loop: Header=BB19_53 Depth=2
	s_or_b64 exec, exec, s[26:27]
	s_andn2_saveexec_b64 s[44:45], s[24:25]
	s_cbranch_execnz .LBB19_68
.LBB19_88:                              ;   in Loop: Header=BB19_53 Depth=2
	s_or_b64 exec, exec, s[44:45]
	s_and_saveexec_b64 s[24:25], s[22:23]
	s_cbranch_execz .LBB19_52
	s_branch .LBB19_216
.LBB19_89:                              ;   in Loop: Header=BB19_53 Depth=2
	s_or_b64 exec, exec, s[26:27]
	s_xor_b64 s[26:27], s[28:29], -1
	s_and_saveexec_b64 s[28:29], s[26:27]
	s_xor_b64 s[26:27], exec, s[28:29]
	s_cbranch_execz .LBB19_91
; %bb.90:                               ;   in Loop: Header=BB19_53 Depth=2
	ds_read_b32 v4, v0 offset:16
	s_waitcnt lgkmcnt(0)
	v_ashrrev_i32_e32 v5, 31, v4
.LBB19_91:                              ;   in Loop: Header=BB19_53 Depth=2
	s_or_b64 exec, exec, s[26:27]
	flat_load_dwordx3 v[6:8], v[38:39] offset:56
	ds_read_b32 v9, v0 offset:8
	v_add_co_u32_e32 v10, vcc, v4, v36
	v_addc_co_u32_e32 v11, vcc, v5, v37, vcc
	s_waitcnt lgkmcnt(0)
	v_add_u32_e32 v4, v9, v59
	v_ashrrev_i32_e32 v5, 31, v4
	s_waitcnt vmcnt(0)
	v_ashrrev_i32_e32 v9, 31, v8
	v_mad_u64_u32 v[4:5], s[26:27], v10, v8, v[4:5]
	v_mul_lo_u32 v9, v10, v9
	v_mul_lo_u32 v8, v11, v8
	v_add3_u32 v5, v8, v5, v9
	v_cmp_ge_u64_e32 vcc, v[6:7], v[4:5]
	s_and_saveexec_b64 s[26:27], vcc
	s_xor_b64 s[26:27], exec, s[26:27]
	s_cbranch_execz .LBB19_93
; %bb.92:                               ;   in Loop: Header=BB19_53 Depth=2
	ds_read_b64 v[4:5], v0 offset:136
	s_waitcnt lgkmcnt(0)
	ds_write_b64 v0, v[4:5] offset:208
.LBB19_93:                              ;   in Loop: Header=BB19_53 Depth=2
	s_andn2_saveexec_b64 s[26:27], s[26:27]
	s_cbranch_execz .LBB19_95
; %bb.94:                               ;   in Loop: Header=BB19_53 Depth=2
	ds_read_b64 v[4:5], v0 offset:48
	s_waitcnt lgkmcnt(0)
	v_add_co_u32_e32 v4, vcc, v2, v4
	v_addc_co_u32_e32 v5, vcc, v3, v5, vcc
	ds_write_b64 v0, v[4:5]
.LBB19_95:                              ;   in Loop: Header=BB19_53 Depth=2
	s_or_b64 exec, exec, s[26:27]
.LBB19_96:                              ;   in Loop: Header=BB19_53 Depth=2
	s_or_b64 exec, exec, s[24:25]
	v_and_b32_e32 v4, 8, v44
	v_cmp_ne_u32_e32 vcc, 0, v4
	s_and_b64 s[26:27], s[48:49], vcc
	s_and_saveexec_b64 s[24:25], s[26:27]
	s_cbranch_execz .LBB19_108
; %bb.97:                               ;   in Loop: Header=BB19_53 Depth=2
	s_waitcnt lgkmcnt(0)
	v_add_co_u32_e32 v4, vcc, 1, v36
	v_addc_co_u32_e32 v5, vcc, 0, v37, vcc
	s_mov_b64 s[26:27], 0
	v_mov_b32_e32 v6, 0
                                        ; implicit-def: $sgpr28_sgpr29
	s_branch .LBB19_102
.LBB19_98:                              ;   in Loop: Header=BB19_102 Depth=3
	s_or_b64 exec, exec, s[58:59]
	v_mov_b32_e32 v7, 0
	s_orn2_b64 s[56:57], s[56:57], exec
.LBB19_99:                              ;   in Loop: Header=BB19_102 Depth=3
	s_or_b64 exec, exec, s[54:55]
	s_and_b64 s[54:55], s[56:57], exec
	v_mov_b32_e32 v6, v7
.LBB19_100:                             ;   in Loop: Header=BB19_102 Depth=3
	s_or_b64 exec, exec, s[52:53]
	s_xor_b64 vcc, s[54:55], -1
	s_andn2_b64 s[28:29], s[28:29], exec
	s_and_b64 vcc, vcc, exec
	s_or_b64 s[28:29], s[28:29], vcc
.LBB19_101:                             ;   in Loop: Header=BB19_102 Depth=3
	s_or_b64 exec, exec, s[50:51]
	s_and_b64 vcc, exec, s[28:29]
	s_or_b64 s[26:27], vcc, s[26:27]
	s_andn2_b64 exec, exec, s[26:27]
	s_cbranch_execz .LBB19_107
.LBB19_102:                             ;   Parent Loop BB19_4 Depth=1
                                        ;     Parent Loop BB19_53 Depth=2
                                        ; =>    This Inner Loop Header: Depth=3
	flat_load_dwordx2 v[8:9], v[38:39] offset:48
	s_or_b64 s[28:29], s[28:29], exec
	s_waitcnt vmcnt(0) lgkmcnt(0)
	v_add_co_u32_e32 v8, vcc, 8, v8
	v_addc_co_u32_e32 v9, vcc, 0, v9, vcc
	v_cmp_lt_u64_e32 vcc, v[8:9], v[4:5]
	s_and_saveexec_b64 s[50:51], vcc
	s_cbranch_execz .LBB19_101
; %bb.103:                              ;   in Loop: Header=BB19_102 Depth=3
	flat_load_dwordx2 v[8:9], v[38:39] offset:32
	v_and_b32_e32 v7, 64, v44
	v_cmp_eq_u32_e32 vcc, 0, v7
	s_mov_b64 s[54:55], 0
	s_waitcnt vmcnt(0) lgkmcnt(0)
	flat_load_dwordx2 v[8:9], v[8:9] glc
	s_waitcnt vmcnt(0) lgkmcnt(0)
	flat_store_dwordx2 v[38:39], v[8:9] offset:48
	s_and_saveexec_b64 s[52:53], vcc
	s_cbranch_execz .LBB19_100
; %bb.104:                              ;   in Loop: Header=BB19_102 Depth=3
	v_add_u32_e32 v7, 1, v6
	v_cmp_lt_i32_e32 vcc, s34, v6
	s_mov_b64 s[56:57], -1
	s_and_saveexec_b64 s[54:55], vcc
	s_cbranch_execz .LBB19_99
; %bb.105:                              ;   in Loop: Header=BB19_102 Depth=3
	s_trap 2
	ds_read_b64 v[6:7], v0
	s_waitcnt vmcnt(0) lgkmcnt(0)
	flat_load_dword v6, v[6:7] glc
	s_waitcnt vmcnt(0) lgkmcnt(0)
	buffer_invl2
	buffer_wbinvl1_vol
	v_cmp_ne_u32_e32 vcc, 0, v6
	s_and_saveexec_b64 s[58:59], vcc
	s_cbranch_execz .LBB19_98
; %bb.106:                              ;   in Loop: Header=BB19_102 Depth=3
	v_or_b32_e32 v44, 64, v44
	s_xor_b64 s[56:57], exec, -1
	ds_write_b32 v0, v6
	s_trap 2
	s_branch .LBB19_98
.LBB19_107:                             ;   in Loop: Header=BB19_53 Depth=2
	s_or_b64 exec, exec, s[26:27]
	flat_load_dwordx2 v[4:5], v[38:39] offset:24
	flat_load_dword v6, v[38:39] offset:64
	ds_read_b32 v7, v0 offset:12
	v_and_b32_e32 v8, 7, v36
	s_waitcnt lgkmcnt(0)
	v_ashrrev_i32_e32 v9, 31, v7
	s_waitcnt vmcnt(0)
	v_mad_i64_i32 v[4:5], s[26:27], v8, v6, v[4:5]
	v_add_co_u32_e32 v4, vcc, v4, v7
	v_addc_co_u32_e32 v5, vcc, v5, v9, vcc
	ds_write_b64 v0, v[4:5] offset:584
.LBB19_108:                             ;   in Loop: Header=BB19_53 Depth=2
	s_or_b64 exec, exec, s[24:25]
	s_trap 2
	ds_read_b32 v4, v0
	ds_read_b64 v[50:51], v0
	v_and_b32_e32 v5, 1, v44
	v_cmp_eq_u32_e64 s[24:25], 1, v5
	s_waitcnt lgkmcnt(0)
	v_cmp_gt_i32_e32 vcc, 0, v4
	s_and_b64 s[28:29], vcc, s[24:25]
	s_and_saveexec_b64 s[26:27], s[28:29]
	s_cbranch_execz .LBB19_120
; %bb.109:                              ;   in Loop: Header=BB19_53 Depth=2
	ds_read_b64 v[4:5], v0 offset:40
	s_waitcnt lgkmcnt(0)
	v_add_co_u32_e32 v0, vcc, v0, v4
	v_addc_co_u32_e32 v1, vcc, v1, v5, vcc
	v_add_co_u32_e32 v4, vcc, v4, v59
	v_addc_co_u32_e32 v5, vcc, 0, v5, vcc
	v_cmp_lt_u64_e32 vcc, v[50:51], v[4:5]
	ds_write_b64 v0, v[0:1] offset:584
	s_and_saveexec_b64 s[28:29], vcc
	s_cbranch_execz .LBB19_111
; %bb.110:                              ;   in Loop: Header=BB19_53 Depth=2
	ds_read_b64 v[0:1], v0 offset:48
	v_pk_mov_b32 v[50:51], v[4:5], v[4:5] op_sel:[0,1]
	s_waitcnt lgkmcnt(0)
	v_add_co_u32_e32 v0, vcc, v2, v0
	v_addc_co_u32_e32 v1, vcc, v3, v1, vcc
.LBB19_111:                             ;   in Loop: Header=BB19_53 Depth=2
	s_or_b64 exec, exec, s[28:29]
	ds_write_b64 v0, v[0:1]
	s_or_b64 exec, exec, s[26:27]
	s_and_saveexec_b64 s[26:27], s[16:17]
	s_xor_b64 s[26:27], exec, s[26:27]
	s_cbranch_execnz .LBB19_121
.LBB19_112:                             ;   in Loop: Header=BB19_53 Depth=2
	s_andn2_saveexec_b64 s[26:27], s[26:27]
	s_cbranch_execz .LBB19_114
.LBB19_113:                             ;   in Loop: Header=BB19_53 Depth=2
	s_waitcnt vmcnt(0) lgkmcnt(0)
	buffer_wbinvl1_vol
	s_barrier
.LBB19_114:                             ;   in Loop: Header=BB19_53 Depth=2
	s_or_b64 exec, exec, s[26:27]
	ds_read_b32 v5, v0 offset:4
	ds_read2_b64 v[0:3], v0 offset0:17 offset1:26
	s_trap 2
	s_mov_b64 s[28:29], -1
	s_waitcnt lgkmcnt(0)
	ds_read_b32 v4, v0
	s_and_saveexec_b64 s[26:27], s[20:21]
	s_cbranch_execz .LBB19_116
; %bb.115:                              ;   in Loop: Header=BB19_53 Depth=2
	ds_read_b32 v6, v0 offset:584
	s_waitcnt lgkmcnt(0)
	v_and_b32_e32 v6, 15, v6
	v_cmp_eq_u32_e32 vcc, 0, v6
	s_orn2_b64 s[28:29], vcc, exec
.LBB19_116:                             ;   in Loop: Header=BB19_53 Depth=2
	s_or_b64 exec, exec, s[26:27]
	v_cmp_gt_i32_e32 vcc, 0, v5
	v_cndmask_b32_e64 v6, 2, 1, vcc
	v_lshrrev_b32_e32 v5, 28, v5
	v_cmp_eq_u64_e32 vcc, v[0:1], v[2:3]
	v_and_b32_e32 v5, 8, v5
	v_subbrev_co_u32_e32 v43, vcc, 0, v6, vcc
	v_add_u32_e32 v33, v0, v5
	v_cmp_lt_i32_e32 vcc, v27, v43
	s_and_saveexec_b64 s[26:27], vcc
	s_cbranch_execz .LBB19_118
; %bb.117:                              ;   in Loop: Header=BB19_53 Depth=2
	v_lshl_add_u32 v0, v27, 3, v33
	ds_read_b32 v0, v0 offset:584
	s_waitcnt lgkmcnt(0)
	v_and_b32_e32 v0, 15, v0
	v_cmp_eq_u32_e32 vcc, 0, v0
	s_and_b64 vcc, s[28:29], vcc
	s_andn2_b64 s[28:29], s[28:29], exec
	s_and_b64 vcc, vcc, exec
	s_or_b64 s[28:29], s[28:29], vcc
.LBB19_118:                             ;   in Loop: Header=BB19_53 Depth=2
	s_or_b64 exec, exec, s[26:27]
	s_xor_b64 s[28:29], s[28:29], -1
	s_waitcnt lgkmcnt(0)
	v_cmp_eq_u32_e32 vcc, 0, v4
	v_cndmask_b32_e64 v0, 0, 1, s[28:29]
	v_mov_b32_e32 v8, 0
	v_cndmask_b32_e32 v47, 0, v59, vcc
	s_mov_b64 s[26:27], -1
	;;#ASMSTART
	;;#ASMEND
	v_cmp_ne_u32_e32 vcc, 0, v0
	s_cbranch_vccz .LBB19_131
; %bb.119:                              ;   in Loop: Header=BB19_53 Depth=2
	v_mov_b32_e32 v9, v22
	v_mov_b32_e32 v4, v23
	s_and_saveexec_b64 s[28:29], s[26:27]
	s_cbranch_execnz .LBB19_171
	s_branch .LBB19_183
.LBB19_120:                             ;   in Loop: Header=BB19_53 Depth=2
	s_or_b64 exec, exec, s[26:27]
	s_and_saveexec_b64 s[26:27], s[16:17]
	s_xor_b64 s[26:27], exec, s[26:27]
	s_cbranch_execz .LBB19_112
.LBB19_121:                             ;   in Loop: Header=BB19_53 Depth=2
	s_and_saveexec_b64 s[28:29], s[18:19]
	s_cbranch_execz .LBB19_161
; %bb.122:                              ;   in Loop: Header=BB19_53 Depth=2
	s_mov_b64 s[52:53], exec
	v_mbcnt_lo_u32_b32 v0, s52, 0
	v_mbcnt_hi_u32_b32 v0, s53, v0
	v_cmp_eq_u32_e32 vcc, 0, v0
	s_waitcnt vmcnt(0) lgkmcnt(0)
	buffer_wbinvl1_vol
	s_and_saveexec_b64 s[50:51], vcc
	s_cbranch_execz .LBB19_124
; %bb.123:                              ;   in Loop: Header=BB19_53 Depth=2
	s_bcnt1_i32_b64 vcc_lo, s[52:53]
	v_mov_b32_e32 v0, vcc_lo
	v_mov_b32_e32 v1, v16
	ds_add_u64 v0, v[0:1]
	s_trap 2
.LBB19_124:                             ;   in Loop: Header=BB19_53 Depth=2
	s_or_b64 exec, exec, s[50:51]
	s_trap 2
	ds_read_b64 v[0:1], v0
	v_add_co_u32_e32 v24, vcc, 2, v24
	v_addc_co_u32_e32 v25, vcc, 0, v25, vcc
	s_waitcnt lgkmcnt(0)
	v_cmp_lt_u64_e32 vcc, v[0:1], v[24:25]
	s_and_saveexec_b64 s[50:51], vcc
	s_cbranch_execz .LBB19_160
; %bb.125:                              ;   in Loop: Header=BB19_53 Depth=2
	s_mov_b32 s62, 0
	s_mov_b64 s[52:53], 0
                                        ; implicit-def: $sgpr54_sgpr55
                                        ; implicit-def: $sgpr56_sgpr57
	s_branch .LBB19_127
.LBB19_126:                             ;   in Loop: Header=BB19_127 Depth=3
	s_or_b64 exec, exec, s[60:61]
	s_and_b64 vcc, exec, vcc
	s_or_b64 s[52:53], vcc, s[52:53]
	s_andn2_b64 vcc, s[54:55], exec
	s_and_b64 s[54:55], s[56:57], exec
	s_or_b64 s[54:55], vcc, s[54:55]
	s_andn2_b64 exec, exec, s[52:53]
	s_cbranch_execz .LBB19_158
.LBB19_127:                             ;   Parent Loop BB19_4 Depth=1
                                        ;     Parent Loop BB19_53 Depth=2
                                        ; =>    This Inner Loop Header: Depth=3
	s_add_i32 s62, s62, 1
	s_cmpk_lg_i32 s62, 0x2710
	s_cselect_b64 s[58:59], -1, 0
	s_and_b64 vcc, exec, s[58:59]
                                        ; implicit-def: $sgpr60_sgpr61
	s_cbranch_vccnz .LBB19_129
; %bb.128:                              ;   in Loop: Header=BB19_127 Depth=3
	s_trap 2
	ds_read_b64 v[0:1], v0
	s_andn2_b64 s[58:59], s[58:59], exec
	s_mov_b32 s62, 0
	s_mov_b64 s[60:61], -1
	s_waitcnt lgkmcnt(0)
	flat_load_dword v0, v[0:1] glc
	s_waitcnt vmcnt(0) lgkmcnt(0)
	buffer_invl2
	buffer_wbinvl1_vol
	v_cmp_eq_u32_e32 vcc, 0, v0
	s_and_b64 vcc, vcc, exec
	s_or_b64 s[58:59], s[58:59], vcc
.LBB19_129:                             ;   in Loop: Header=BB19_127 Depth=3
	s_andn2_b64 s[56:57], s[56:57], exec
	s_and_b64 s[60:61], s[60:61], exec
	s_mov_b64 vcc, -1
	s_or_b64 s[56:57], s[56:57], s[60:61]
	s_and_saveexec_b64 s[60:61], s[58:59]
	s_cbranch_execz .LBB19_126
; %bb.130:                              ;   in Loop: Header=BB19_127 Depth=3
	s_sleep 1
	s_trap 2
	ds_read_b64 v[0:1], v0
	s_andn2_b64 s[56:57], s[56:57], exec
	s_waitcnt lgkmcnt(0)
	v_cmp_ge_u64_e32 vcc, v[0:1], v[24:25]
	s_orn2_b64 vcc, vcc, exec
	s_branch .LBB19_126
.LBB19_131:                             ;   in Loop: Header=BB19_53 Depth=2
	v_lshrrev_b32_e32 v0, 12, v47
	v_sub_u32_e32 v56, v0, v23
	v_cmp_lt_i32_e32 vcc, 0, v56
	s_and_saveexec_b64 s[28:29], vcc
	s_cbranch_execz .LBB19_137
; %bb.132:                              ;   in Loop: Header=BB19_53 Depth=2
	v_accvgpr_write_b32 a4, v52
	v_accvgpr_write_b32 a5, v53
	ds_read_b64 v[52:53], v0 offset:584
	ds_read_b64 v[54:55], v33 offset:584
	v_cmp_lt_u32_e32 vcc, 1, v43
	s_mov_b64 s[50:51], 0
	v_pk_mov_b32 v[40:41], 0, 0
	s_branch .LBB19_134
.LBB19_133:                             ;   in Loop: Header=BB19_134 Depth=3
	s_or_b64 exec, exec, s[52:53]
	v_accvgpr_read_b32 v0, a14
	v_add_co_u32_e64 v40, s[26:27], v40, v0
	v_accvgpr_read_b32 v1, a21
	v_addc_co_u32_e64 v41, s[26:27], v41, v1, s[26:27]
	v_add_co_u32_e64 v52, s[26:27], v52, v57
	v_sub_u32_e32 v56, v56, v26
	v_addc_co_u32_e64 v53, s[26:27], v53, v58, s[26:27]
	v_cmp_gt_i32_e64 s[26:27], 1, v56
	s_or_b64 s[50:51], s[26:27], s[50:51]
	v_add_co_u32_e64 v54, s[26:27], v54, v57
	v_addc_co_u32_e64 v55, s[26:27], v55, v58, s[26:27]
	s_andn2_b64 exec, exec, s[50:51]
	s_cbranch_execz .LBB19_136
.LBB19_134:                             ;   Parent Loop BB19_4 Depth=1
                                        ;     Parent Loop BB19_53 Depth=2
                                        ; =>    This Inner Loop Header: Depth=3
	v_accvgpr_read_b32 v18, a12
	s_waitcnt lgkmcnt(0)
	v_add_co_u32_e64 v0, s[26:27], v18, v52
	v_accvgpr_read_b32 v17, a13
	v_addc_co_u32_e64 v1, s[26:27], v17, v53, s[26:27]
	global_load_dwordx4 v[12:15], v[0:1], off glc slc
	global_load_dwordx4 v[8:11], v[0:1], off offset:1024 glc slc
	global_load_dwordx4 v[4:7], v[0:1], off offset:2048 glc slc
	s_nop 0
	global_load_dwordx4 v[0:3], v[0:1], off offset:3072 glc slc
	s_waitcnt lgkmcnt(0)
	v_add_co_u32_e64 v18, s[26:27], v18, v54
	v_addc_co_u32_e64 v19, s[26:27], v17, v55, s[26:27]
	s_waitcnt vmcnt(0)
	global_store_dwordx4 v[18:19], v[12:15], off glc slc
	s_waitcnt vmcnt(3)
	global_store_dwordx4 v[18:19], v[8:11], off offset:1024 glc slc
	s_waitcnt vmcnt(3)
	global_store_dwordx4 v[18:19], v[4:7], off offset:2048 glc slc
	;; [unrolled: 2-line block ×3, first 2 shown]
	s_and_saveexec_b64 s[52:53], vcc
	s_cbranch_execz .LBB19_133
; %bb.135:                              ;   in Loop: Header=BB19_134 Depth=3
	ds_read_b64 v[18:19], v33 offset:592
	v_accvgpr_read_b32 v20, a12
	v_add_co_u32_e64 v17, s[26:27], v20, v40
	v_accvgpr_read_b32 v29, a13
	v_addc_co_u32_e64 v20, s[26:27], v29, v41, s[26:27]
	s_waitcnt lgkmcnt(0)
	v_add_co_u32_e64 v18, s[26:27], v17, v18
	v_addc_co_u32_e64 v19, s[26:27], v20, v19, s[26:27]
	global_store_dwordx4 v[18:19], v[12:15], off glc slc
	global_store_dwordx4 v[18:19], v[8:11], off offset:1024 glc slc
	global_store_dwordx4 v[18:19], v[4:7], off offset:2048 glc slc
	;; [unrolled: 1-line block ×3, first 2 shown]
	s_branch .LBB19_133
.LBB19_136:                             ;   in Loop: Header=BB19_53 Depth=2
	s_or_b64 exec, exec, s[50:51]
	v_accvgpr_read_b32 v53, a5
	v_accvgpr_read_b32 v20, a16
	;; [unrolled: 1-line block ×5, first 2 shown]
.LBB19_137:                             ;   in Loop: Header=BB19_53 Depth=2
	s_or_b64 exec, exec, s[28:29]
	v_and_b32_e32 v0, 0x7ffff000, v47
	v_cmp_ne_u32_e32 vcc, v0, v47
	s_mov_b64 s[26:27], 0
	v_mov_b32_e32 v8, 0
                                        ; implicit-def: $vgpr9
                                        ; implicit-def: $vgpr4
	s_and_saveexec_b64 s[50:51], vcc
	s_cbranch_execz .LBB19_170
; %bb.138:                              ;   in Loop: Header=BB19_53 Depth=2
	v_lshlrev_b32_e32 v1, 6, v56
	v_sub_u32_e32 v1, v27, v1
	v_ashrrev_i32_e32 v3, 31, v1
	v_lshrrev_b32_e32 v3, 26, v3
	v_add_u32_e32 v3, v1, v3
	v_ashrrev_i32_e32 v4, 6, v3
	v_and_b32_e32 v3, 0xffffffc0, v3
	v_and_b32_e32 v2, 0xfff, v47
	v_sub_u32_e32 v12, v1, v3
	v_and_b32_e32 v5, 0xc00, v47
	v_lshlrev_b32_e32 v1, 4, v12
	v_sub_u32_e32 v14, v2, v5
	v_lshl_add_u32 v1, v4, 10, v1
	v_bfe_u32 v3, v47, 10, 2
	v_cmp_lt_i32_e32 vcc, 15, v14
	v_sub_u32_e32 v15, v2, v1
	v_addc_co_u32_e64 v2, s[26:27], 0, v3, vcc
	v_sub_u32_e32 v13, v2, v4
	v_cmp_lt_i32_e64 s[26:27], 15, v15
	s_and_saveexec_b64 s[52:53], s[26:27]
	s_cbranch_execz .LBB19_167
; %bb.139:                              ;   in Loop: Header=BB19_53 Depth=2
	ds_read_b64 v[6:7], v33 offset:584
	ds_read_b64 v[8:9], v0 offset:584
	v_add_u32_e32 v4, v1, v0
	v_ashrrev_i32_e32 v5, 31, v4
	v_cmp_lt_i32_e64 s[26:27], 1, v43
	s_mov_b64 s[54:55], 0
	v_pk_mov_b32 v[10:11], v[4:5], v[4:5] op_sel:[0,1]
	s_branch .LBB19_141
.LBB19_140:                             ;   in Loop: Header=BB19_141 Depth=3
	s_or_b64 exec, exec, s[56:57]
	v_add_co_u32_e64 v10, s[28:29], v10, v20
	v_sub_u32_e32 v15, v15, v20
	v_addc_co_u32_e64 v11, s[28:29], v11, v17, s[28:29]
	v_cmp_gt_i32_e64 s[28:29], 16, v15
	s_or_b64 s[54:55], s[28:29], s[54:55]
	v_add_co_u32_e64 v4, s[28:29], v4, v30
	v_sub_u32_e32 v13, v13, v26
	v_addc_co_u32_e64 v5, s[28:29], v5, v32, s[28:29]
	s_andn2_b64 exec, exec, s[54:55]
	s_cbranch_execz .LBB19_166
.LBB19_141:                             ;   Parent Loop BB19_4 Depth=1
                                        ;     Parent Loop BB19_53 Depth=2
                                        ; =>    This Inner Loop Header: Depth=3
	s_waitcnt lgkmcnt(0)
	v_add_co_u32_e64 v0, s[28:29], v8, v4
	v_addc_co_u32_e64 v1, s[28:29], v9, v5, s[28:29]
	global_load_dwordx4 v[0:3], v[0:1], off glc slc
	v_add_co_u32_e64 v18, s[28:29], v6, v4
	v_addc_co_u32_e64 v19, s[28:29], v7, v5, s[28:29]
	s_waitcnt vmcnt(0)
	global_store_dwordx4 v[18:19], v[0:3], off glc slc
	s_and_saveexec_b64 s[56:57], s[26:27]
	s_cbranch_execz .LBB19_140
; %bb.142:                              ;   in Loop: Header=BB19_141 Depth=3
	ds_read_b64 v[18:19], v33 offset:592
	s_waitcnt lgkmcnt(0)
	v_add_co_u32_e64 v18, s[28:29], v10, v18
	v_addc_co_u32_e64 v19, s[28:29], v11, v19, s[28:29]
	global_store_dwordx4 v[18:19], v[0:3], off glc slc
	s_branch .LBB19_140
.LBB19_143:                             ;   in Loop: Header=BB19_53 Depth=2
	s_or_b64 exec, exec, s[46:47]
	s_and_saveexec_b64 vcc, s[48:49]
	s_xor_b64 vcc, exec, vcc
	s_cbranch_execz .LBB19_145
; %bb.144:                              ;   in Loop: Header=BB19_53 Depth=2
	ds_write_b32 v0, v34
	s_trap 2
.LBB19_145:                             ;   in Loop: Header=BB19_53 Depth=2
	s_or_b64 exec, exec, s[44:45]
	;;#ASMSTART
	s_wakeup
	;;#ASMEND
.LBB19_146:                             ;   in Loop: Header=BB19_53 Depth=2
	s_or_b64 exec, exec, s[28:29]
	s_andn2_saveexec_b64 s[26:27], s[26:27]
	s_cbranch_execnz .LBB19_84
.LBB19_147:                             ;   in Loop: Header=BB19_53 Depth=2
	s_or_b64 exec, exec, s[26:27]
	s_and_saveexec_b64 s[26:27], s[16:17]
	s_xor_b64 s[26:27], exec, s[26:27]
	s_cbranch_execz .LBB19_85
.LBB19_148:                             ;   in Loop: Header=BB19_53 Depth=2
	s_and_saveexec_b64 s[28:29], s[18:19]
	s_cbranch_execz .LBB19_165
; %bb.149:                              ;   in Loop: Header=BB19_53 Depth=2
	s_mov_b64 s[46:47], exec
	v_mbcnt_lo_u32_b32 v0, s46, 0
	v_mbcnt_hi_u32_b32 v0, s47, v0
	v_cmp_eq_u32_e32 vcc, 0, v0
	s_waitcnt vmcnt(0) lgkmcnt(0)
	buffer_wbinvl1_vol
	s_and_saveexec_b64 s[44:45], vcc
	s_cbranch_execz .LBB19_151
; %bb.150:                              ;   in Loop: Header=BB19_53 Depth=2
	s_bcnt1_i32_b64 vcc_lo, s[46:47]
	v_mov_b32_e32 v0, vcc_lo
	v_mov_b32_e32 v1, v16
	ds_add_u64 v0, v[0:1]
	s_trap 2
.LBB19_151:                             ;   in Loop: Header=BB19_53 Depth=2
	s_or_b64 exec, exec, s[44:45]
	s_trap 2
	ds_read_b64 v[0:1], v0
	v_add_co_u32_e32 v24, vcc, 2, v24
	v_addc_co_u32_e32 v25, vcc, 0, v25, vcc
	s_waitcnt lgkmcnt(0)
	v_cmp_lt_u64_e32 vcc, v[0:1], v[24:25]
	s_and_saveexec_b64 s[44:45], vcc
	s_cbranch_execz .LBB19_164
; %bb.152:                              ;   in Loop: Header=BB19_53 Depth=2
	s_mov_b32 s56, 0
	s_mov_b64 s[46:47], 0
                                        ; implicit-def: $sgpr48_sgpr49
                                        ; implicit-def: $sgpr50_sgpr51
	s_branch .LBB19_154
.LBB19_153:                             ;   in Loop: Header=BB19_154 Depth=3
	s_or_b64 exec, exec, s[54:55]
	s_and_b64 vcc, exec, vcc
	s_or_b64 s[46:47], vcc, s[46:47]
	s_andn2_b64 vcc, s[48:49], exec
	s_and_b64 s[48:49], s[50:51], exec
	s_or_b64 s[48:49], vcc, s[48:49]
	s_andn2_b64 exec, exec, s[46:47]
	s_cbranch_execz .LBB19_162
.LBB19_154:                             ;   Parent Loop BB19_4 Depth=1
                                        ;     Parent Loop BB19_53 Depth=2
                                        ; =>    This Inner Loop Header: Depth=3
	s_add_i32 s56, s56, 1
	s_cmpk_lg_i32 s56, 0x2710
	s_cselect_b64 s[52:53], -1, 0
	s_and_b64 vcc, exec, s[52:53]
                                        ; implicit-def: $sgpr54_sgpr55
	s_cbranch_vccnz .LBB19_156
; %bb.155:                              ;   in Loop: Header=BB19_154 Depth=3
	s_trap 2
	ds_read_b64 v[0:1], v0
	s_andn2_b64 s[52:53], s[52:53], exec
	s_mov_b32 s56, 0
	s_mov_b64 s[54:55], -1
	s_waitcnt lgkmcnt(0)
	flat_load_dword v0, v[0:1] glc
	s_waitcnt vmcnt(0) lgkmcnt(0)
	buffer_invl2
	buffer_wbinvl1_vol
	v_cmp_eq_u32_e32 vcc, 0, v0
	s_and_b64 vcc, vcc, exec
	s_or_b64 s[52:53], s[52:53], vcc
.LBB19_156:                             ;   in Loop: Header=BB19_154 Depth=3
	s_andn2_b64 s[50:51], s[50:51], exec
	s_and_b64 s[54:55], s[54:55], exec
	s_mov_b64 vcc, -1
	s_or_b64 s[50:51], s[50:51], s[54:55]
	s_and_saveexec_b64 s[54:55], s[52:53]
	s_cbranch_execz .LBB19_153
; %bb.157:                              ;   in Loop: Header=BB19_154 Depth=3
	s_sleep 1
	s_trap 2
	ds_read_b64 v[0:1], v0
	s_andn2_b64 s[50:51], s[50:51], exec
	s_waitcnt lgkmcnt(0)
	v_cmp_ge_u64_e32 vcc, v[0:1], v[24:25]
	s_orn2_b64 vcc, vcc, exec
	s_branch .LBB19_153
.LBB19_158:                             ;   in Loop: Header=BB19_53 Depth=2
	s_or_b64 exec, exec, s[52:53]
	s_and_saveexec_b64 vcc, s[54:55]
	s_xor_b64 vcc, exec, vcc
	s_cbranch_execz .LBB19_160
; %bb.159:                              ;   in Loop: Header=BB19_53 Depth=2
	ds_write_b32 v0, v34
	s_trap 2
.LBB19_160:                             ;   in Loop: Header=BB19_53 Depth=2
	s_or_b64 exec, exec, s[50:51]
	;;#ASMSTART
	s_wakeup
	;;#ASMEND
.LBB19_161:                             ;   in Loop: Header=BB19_53 Depth=2
	s_or_b64 exec, exec, s[28:29]
	s_andn2_saveexec_b64 s[26:27], s[26:27]
	s_cbranch_execnz .LBB19_113
	s_branch .LBB19_114
.LBB19_162:                             ;   in Loop: Header=BB19_53 Depth=2
	s_or_b64 exec, exec, s[46:47]
	s_and_saveexec_b64 vcc, s[48:49]
	s_xor_b64 vcc, exec, vcc
	s_cbranch_execz .LBB19_164
; %bb.163:                              ;   in Loop: Header=BB19_53 Depth=2
	ds_write_b32 v0, v34
	s_trap 2
.LBB19_164:                             ;   in Loop: Header=BB19_53 Depth=2
	s_or_b64 exec, exec, s[44:45]
	;;#ASMSTART
	s_wakeup
	;;#ASMEND
.LBB19_165:                             ;   in Loop: Header=BB19_53 Depth=2
	s_or_b64 exec, exec, s[28:29]
	s_andn2_saveexec_b64 s[26:27], s[26:27]
	s_cbranch_execnz .LBB19_86
	s_branch .LBB19_87
.LBB19_166:                             ;   in Loop: Header=BB19_53 Depth=2
	s_or_b64 exec, exec, s[54:55]
.LBB19_167:                             ;   in Loop: Header=BB19_53 Depth=2
	s_or_b64 exec, exec, s[52:53]
	v_and_b32_e32 v1, 15, v47
	v_cndmask_b32_e32 v0, v14, v1, vcc
	v_cmp_ne_u32_e64 s[26:27], 0, v0
	s_mov_b64 s[28:29], 0
	v_mov_b32_e32 v8, 0
                                        ; implicit-def: $vgpr9
                                        ; implicit-def: $vgpr4
	s_and_saveexec_b64 s[52:53], s[26:27]
	s_cbranch_execz .LBB19_169
; %bb.168:                              ;   in Loop: Header=BB19_53 Depth=2
	v_sub_u32_e32 v1, v14, v1
	v_and_b32_e32 v2, 0x7ffffc00, v47
	v_cndmask_b32_e32 v1, 0, v1, vcc
	v_cmp_lt_i32_e32 vcc, 0, v13
	v_add_u32_e32 v8, v1, v2
	v_cndmask_b32_e32 v1, 0, v26, vcc
	v_sub_u32_e32 v1, v1, v13
	v_lshl_add_u32 v9, v1, 6, v12
	v_ashrrev_i32_e32 v1, 31, v9
	v_lshrrev_b32_e32 v1, 26, v1
	v_add_u32_e32 v1, v9, v1
	s_mov_b64 s[28:29], exec
	v_ashrrev_i32_e32 v4, 6, v1
.LBB19_169:                             ;   in Loop: Header=BB19_53 Depth=2
	s_or_b64 exec, exec, s[52:53]
	s_and_b64 s[26:27], s[28:29], exec
	v_mov_b32_e32 v47, v0
.LBB19_170:                             ;   in Loop: Header=BB19_53 Depth=2
	s_or_b64 exec, exec, s[50:51]
	s_and_saveexec_b64 s[28:29], s[26:27]
	s_cbranch_execz .LBB19_183
.LBB19_171:                             ;   in Loop: Header=BB19_53 Depth=2
	v_ashrrev_i32_e32 v0, 31, v47
	v_lshrrev_b32_e32 v0, 21, v0
	v_add_u32_e32 v0, v47, v0
	v_ashrrev_i32_e32 v1, 11, v0
	v_sub_u32_e32 v10, v1, v4
	v_ashrrev_i32_e32 v0, 31, v9
	v_cmp_lt_i32_e32 vcc, 0, v10
	v_lshrrev_b32_e32 v5, 26, v0
	s_and_saveexec_b64 s[50:51], vcc
	s_cbranch_execz .LBB19_177
; %bb.172:                              ;   in Loop: Header=BB19_53 Depth=2
	v_accvgpr_write_b32 a30, v1
	ds_read_b64 v[0:1], v0 offset:584
	ds_read_b64 v[2:3], v33 offset:584
	v_accvgpr_write_b32 a26, v5
	v_add_u32_e32 v5, v9, v5
	v_and_b32_e32 v5, 0xffffffc0, v5
	v_sub_u32_e32 v5, v9, v5
	v_lshlrev_b32_e32 v4, 11, v4
	v_accvgpr_write_b32 a28, v52
	v_accvgpr_write_b32 a10, v24
	v_add3_u32 v4, v5, v4, v8
	v_accvgpr_write_b32 a29, v53
	v_accvgpr_write_b32 a24, v59
	;; [unrolled: 1-line block ×13, first 2 shown]
	v_ashrrev_i32_e32 v5, 31, v4
	v_cmp_lt_i32_e32 vcc, 1, v43
	s_mov_b64 s[52:53], 0
	v_pk_mov_b32 v[6:7], 0, 0
	s_branch .LBB19_174
.LBB19_173:                             ;   in Loop: Header=BB19_174 Depth=3
	s_or_b64 exec, exec, s[54:55]
	v_accvgpr_read_b32 v12, a18
	v_add_co_u32_e64 v6, s[26:27], v6, v12
	v_accvgpr_read_b32 v11, a25
	v_addc_co_u32_e64 v7, s[26:27], v7, v11, s[26:27]
	v_accvgpr_read_b32 v26, a4
	v_add_co_u32_e64 v0, s[26:27], v0, v61
	v_sub_u32_e32 v10, v10, v26
	v_addc_co_u32_e64 v1, s[26:27], v1, v62, s[26:27]
	v_cmp_gt_i32_e64 s[26:27], 1, v10
	s_or_b64 s[52:53], s[26:27], s[52:53]
	v_add_co_u32_e64 v2, s[26:27], v2, v61
	v_addc_co_u32_e64 v3, s[26:27], v3, v62, s[26:27]
	s_andn2_b64 exec, exec, s[52:53]
	s_cbranch_execz .LBB19_176
.LBB19_174:                             ;   Parent Loop BB19_4 Depth=1
                                        ;     Parent Loop BB19_53 Depth=2
                                        ; =>    This Inner Loop Header: Depth=3
	v_accvgpr_write_b32 a4, v26
	s_waitcnt lgkmcnt(0)
	v_add_co_u32_e64 v26, s[26:27], v4, v0
	v_addc_co_u32_e64 v27, s[26:27], v5, v1, s[26:27]
	flat_load_ubyte v13, v[26:27] glc slc
	flat_load_ubyte v14, v[26:27] offset:64 glc slc
	flat_load_ubyte v15, v[26:27] offset:128 glc slc
	;; [unrolled: 1-line block ×31, first 2 shown]
	s_waitcnt lgkmcnt(0)
	v_add_co_u32_e64 v26, s[26:27], v4, v2
	v_addc_co_u32_e64 v27, s[26:27], v5, v3, s[26:27]
	s_waitcnt vmcnt(0)
	flat_store_byte v[26:27], v13 glc slc
	flat_store_byte v[26:27], v14 offset:64 glc slc
	flat_store_byte v[26:27], v15 offset:128 glc slc
	;; [unrolled: 1-line block ×31, first 2 shown]
	s_and_saveexec_b64 s[54:55], vcc
	s_cbranch_execz .LBB19_173
; %bb.175:                              ;   in Loop: Header=BB19_174 Depth=3
	ds_read_b64 v[26:27], v33 offset:592
	v_add_co_u32_e64 v28, s[26:27], v4, v6
	v_addc_co_u32_e64 v12, s[26:27], v5, v7, s[26:27]
	s_waitcnt lgkmcnt(0)
	v_add_co_u32_e64 v26, s[26:27], v28, v26
	v_addc_co_u32_e64 v27, s[26:27], v12, v27, s[26:27]
	flat_store_byte v[26:27], v13 glc slc
	flat_store_byte v[26:27], v14 offset:64 glc slc
	flat_store_byte v[26:27], v15 offset:128 glc slc
	;; [unrolled: 1-line block ×31, first 2 shown]
	s_branch .LBB19_173
.LBB19_176:                             ;   in Loop: Header=BB19_53 Depth=2
	s_or_b64 exec, exec, s[52:53]
	v_accvgpr_read_b32 v25, a11
	v_accvgpr_read_b32 v53, a29
	;; [unrolled: 1-line block ×3, first 2 shown]
	v_mov_b32_e32 v34, 1
	v_mov_b32_e32 v35, 2
	v_mov_b32_e32 v48, -1
	v_accvgpr_read_b32 v28, a6
	v_accvgpr_read_b32 v22, a8
	;; [unrolled: 1-line block ×18, first 2 shown]
.LBB19_177:                             ;   in Loop: Header=BB19_53 Depth=2
	s_or_b64 exec, exec, s[50:51]
	v_lshlrev_b32_e32 v0, 11, v1
	v_cmp_ne_u32_e32 vcc, v47, v0
	s_and_b64 exec, exec, vcc
	s_cbranch_execz .LBB19_183
; %bb.178:                              ;   in Loop: Header=BB19_53 Depth=2
	v_add_u32_e32 v1, v9, v5
	v_and_b32_e32 v1, 0xffffffc0, v1
	v_sub_u32_e32 v1, v9, v1
	v_lshlrev_b32_e32 v2, 6, v10
	v_sub_u32_e32 v1, v1, v2
	v_add_u32_e32 v0, v0, v1
	v_sub_u32_e32 v9, v47, v0
	v_cmp_lt_i32_e32 vcc, 0, v9
	s_and_b64 exec, exec, vcc
	s_cbranch_execz .LBB19_183
; %bb.179:                              ;   in Loop: Header=BB19_53 Depth=2
	v_add_u32_e32 v0, v0, v8
	ds_read_b64 v[2:3], v33 offset:584
	ds_read_b64 v[4:5], v0 offset:584
	v_ashrrev_i32_e32 v1, 31, v0
	v_cmp_lt_i32_e32 vcc, 1, v43
	s_mov_b64 s[50:51], 0
	v_pk_mov_b32 v[6:7], v[0:1], v[0:1] op_sel:[0,1]
	s_branch .LBB19_181
.LBB19_180:                             ;   in Loop: Header=BB19_181 Depth=3
	s_or_b64 exec, exec, s[52:53]
	v_add_co_u32_e64 v6, s[26:27], v6, v28
	v_sub_u32_e32 v9, v9, v28
	v_addc_co_u32_e64 v7, s[26:27], v7, v29, s[26:27]
	v_cmp_gt_i32_e64 s[26:27], 1, v9
	s_or_b64 s[50:51], s[26:27], s[50:51]
	v_add_co_u32_e64 v0, s[26:27], v0, v49
	v_addc_co_u32_e64 v1, s[26:27], v1, v42, s[26:27]
	s_andn2_b64 exec, exec, s[50:51]
	s_cbranch_execz .LBB19_183
.LBB19_181:                             ;   Parent Loop BB19_4 Depth=1
                                        ;     Parent Loop BB19_53 Depth=2
                                        ; =>    This Inner Loop Header: Depth=3
	s_waitcnt lgkmcnt(0)
	v_add_co_u32_e64 v10, s[26:27], v4, v0
	v_addc_co_u32_e64 v11, s[26:27], v5, v1, s[26:27]
	flat_load_ubyte v8, v[10:11] glc slc
	v_add_co_u32_e64 v10, s[26:27], v2, v0
	v_addc_co_u32_e64 v11, s[26:27], v3, v1, s[26:27]
	s_waitcnt vmcnt(0) lgkmcnt(0)
	flat_store_byte v[10:11], v8 glc slc
	s_and_saveexec_b64 s[52:53], vcc
	s_cbranch_execz .LBB19_180
; %bb.182:                              ;   in Loop: Header=BB19_181 Depth=3
	ds_read_b64 v[10:11], v33 offset:592
	s_waitcnt lgkmcnt(0)
	v_add_co_u32_e64 v10, s[26:27], v6, v10
	v_addc_co_u32_e64 v11, s[26:27], v7, v11, s[26:27]
	flat_store_byte v[10:11], v8 glc slc
	s_branch .LBB19_180
.LBB19_183:                             ;   in Loop: Header=BB19_53 Depth=2
	s_or_b64 exec, exec, s[28:29]
	v_cmp_ne_u32_e32 vcc, 0, v53
	v_and_b32_e32 v0, 16, v44
	s_and_b64 s[26:27], vcc, s[48:49]
	v_cmp_ne_u32_e32 vcc, 0, v0
	s_and_b64 s[26:27], s[26:27], vcc
	s_and_saveexec_b64 s[28:29], s[26:27]
	s_cbranch_execz .LBB19_187
; %bb.184:                              ;   in Loop: Header=BB19_53 Depth=2
	flat_load_dwordx2 v[0:1], v[38:39] offset:16
	s_waitcnt vmcnt(0) lgkmcnt(0)
	v_cmp_ne_u64_e32 vcc, 0, v[0:1]
	s_and_saveexec_b64 s[48:49], vcc
	s_cbranch_execz .LBB19_186
; %bb.185:                              ;   in Loop: Header=BB19_53 Depth=2
	ds_read_b32 v2, v0 offset:12
	v_and_b32_e32 v3, 7, v36
	v_mad_u64_u32 v[0:1], vcc, v3, 24, v[0:1]
	s_waitcnt lgkmcnt(0)
	v_add_u32_e32 v2, v2, v59
	v_ashrrev_i32_e32 v3, 31, v2
	flat_store_dwordx2 v[0:1], v[2:3] offset:8
.LBB19_186:                             ;   in Loop: Header=BB19_53 Depth=2
	s_or_b64 exec, exec, s[48:49]
	flat_load_dwordx2 v[0:1], v[38:39] offset:8
	v_add_co_u32_e32 v36, vcc, 1, v36
	v_addc_co_u32_e32 v37, vcc, 0, v37, vcc
	flat_store_dwordx2 v[38:39], v[36:37]
	s_waitcnt vmcnt(0) lgkmcnt(0)
	flat_store_dwordx2 v[0:1], v[36:37] offset:104 glc slc
.LBB19_187:                             ;   in Loop: Header=BB19_53 Depth=2
	s_or_b64 exec, exec, s[28:29]
	v_cmp_ne_u32_e32 vcc, 0, v52
	v_and_b32_e32 v0, 32, v44
	s_and_b64 s[28:29], s[46:47], vcc
	v_cmp_ne_u32_e32 vcc, 0, v0
	s_and_b64 s[28:29], s[28:29], vcc
	s_and_saveexec_b64 s[46:47], s[28:29]
	s_cbranch_execz .LBB19_189
; %bb.188:                              ;   in Loop: Header=BB19_53 Depth=2
	flat_load_dwordx2 v[0:1], v[38:39] offset:8
	v_add_co_u32_e32 v36, vcc, 1, v36
	v_addc_co_u32_e32 v37, vcc, 0, v37, vcc
	flat_store_dwordx2 v[38:39], v[36:37]
	s_waitcnt vmcnt(0) lgkmcnt(0)
	flat_store_dwordx2 v[0:1], v[36:37] offset:104 glc slc
.LBB19_189:                             ;   in Loop: Header=BB19_53 Depth=2
	s_or_b64 exec, exec, s[46:47]
	ds_read_b32 v0, v0
	s_waitcnt lgkmcnt(0)
	v_cmp_lt_i32_e32 vcc, -1, v0
	s_and_saveexec_b64 s[46:47], vcc
	s_xor_b64 s[46:47], exec, s[46:47]
	s_cbranch_execz .LBB19_204
; %bb.190:                              ;   in Loop: Header=BB19_53 Depth=2
	v_and_b32_e32 v0, 4, v44
	v_cmp_ne_u32_e32 vcc, 0, v0
	s_and_saveexec_b64 s[48:49], vcc
	s_cbranch_execz .LBB19_192
; %bb.191:                              ;   in Loop: Header=BB19_53 Depth=2
	flat_load_dword v4, v[38:39] offset:64
	ds_read2_b32 v[0:1], v0 offset0:2 offset1:4
	s_waitcnt lgkmcnt(0)
	v_add_u32_e32 v2, v0, v59
	v_ashrrev_i32_e32 v0, 31, v1
	v_add_co_u32_e32 v5, vcc, v36, v1
	v_ashrrev_i32_e32 v3, 31, v2
	v_addc_co_u32_e32 v6, vcc, v37, v0, vcc
	s_waitcnt vmcnt(0)
	v_ashrrev_i32_e32 v7, 31, v4
	v_mad_u64_u32 v[0:1], vcc, v5, v4, v[2:3]
	v_mul_lo_u32 v2, v5, v7
	v_mul_lo_u32 v3, v6, v4
	v_add3_u32 v1, v3, v1, v2
	flat_atomic_smax_x2 v[38:39], v[0:1] offset:56
.LBB19_192:                             ;   in Loop: Header=BB19_53 Depth=2
	s_or_b64 exec, exec, s[48:49]
                                        ; implicit-def: $vgpr50_vgpr51
	s_andn2_saveexec_b64 s[46:47], s[46:47]
	s_cbranch_execnz .LBB19_205
.LBB19_193:                             ;   in Loop: Header=BB19_53 Depth=2
	s_or_b64 exec, exec, s[46:47]
	s_and_saveexec_b64 s[24:25], s[16:17]
	s_xor_b64 s[24:25], exec, s[24:25]
	s_cbranch_execz .LBB19_211
.LBB19_194:                             ;   in Loop: Header=BB19_53 Depth=2
	s_and_saveexec_b64 s[46:47], s[18:19]
	s_cbranch_execz .LBB19_220
; %bb.195:                              ;   in Loop: Header=BB19_53 Depth=2
	s_mov_b64 s[50:51], exec
	v_mbcnt_lo_u32_b32 v0, s50, 0
	v_mbcnt_hi_u32_b32 v0, s51, v0
	v_cmp_eq_u32_e32 vcc, 0, v0
	s_waitcnt vmcnt(0) lgkmcnt(0)
	buffer_wbinvl1_vol
	s_and_saveexec_b64 s[48:49], vcc
	s_cbranch_execz .LBB19_197
; %bb.196:                              ;   in Loop: Header=BB19_53 Depth=2
	s_bcnt1_i32_b64 vcc_lo, s[50:51]
	v_mov_b32_e32 v0, vcc_lo
	v_mov_b32_e32 v1, v16
	ds_add_u64 v0, v[0:1]
	s_trap 2
.LBB19_197:                             ;   in Loop: Header=BB19_53 Depth=2
	s_or_b64 exec, exec, s[48:49]
	s_trap 2
	ds_read_b64 v[0:1], v0
	v_add_co_u32_e32 v24, vcc, 2, v24
	v_addc_co_u32_e32 v25, vcc, 0, v25, vcc
	s_waitcnt lgkmcnt(0)
	v_cmp_lt_u64_e32 vcc, v[0:1], v[24:25]
	s_and_saveexec_b64 s[48:49], vcc
	s_cbranch_execz .LBB19_219
; %bb.198:                              ;   in Loop: Header=BB19_53 Depth=2
	s_mov_b32 s60, 0
	s_mov_b64 s[50:51], 0
                                        ; implicit-def: $sgpr52_sgpr53
                                        ; implicit-def: $sgpr54_sgpr55
	s_branch .LBB19_200
.LBB19_199:                             ;   in Loop: Header=BB19_200 Depth=3
	s_or_b64 exec, exec, s[58:59]
	s_and_b64 vcc, exec, vcc
	s_or_b64 s[50:51], vcc, s[50:51]
	s_andn2_b64 vcc, s[52:53], exec
	s_and_b64 s[52:53], s[54:55], exec
	s_or_b64 s[52:53], vcc, s[52:53]
	s_andn2_b64 exec, exec, s[50:51]
	s_cbranch_execz .LBB19_217
.LBB19_200:                             ;   Parent Loop BB19_4 Depth=1
                                        ;     Parent Loop BB19_53 Depth=2
                                        ; =>    This Inner Loop Header: Depth=3
	s_add_i32 s60, s60, 1
	s_cmpk_lg_i32 s60, 0x2710
	s_cselect_b64 s[56:57], -1, 0
	s_and_b64 vcc, exec, s[56:57]
                                        ; implicit-def: $sgpr58_sgpr59
	s_cbranch_vccnz .LBB19_202
; %bb.201:                              ;   in Loop: Header=BB19_200 Depth=3
	s_trap 2
	ds_read_b64 v[0:1], v0
	s_andn2_b64 s[56:57], s[56:57], exec
	s_mov_b32 s60, 0
	s_mov_b64 s[58:59], -1
	s_waitcnt lgkmcnt(0)
	flat_load_dword v0, v[0:1] glc
	s_waitcnt vmcnt(0) lgkmcnt(0)
	buffer_invl2
	buffer_wbinvl1_vol
	v_cmp_eq_u32_e32 vcc, 0, v0
	s_and_b64 vcc, vcc, exec
	s_or_b64 s[56:57], s[56:57], vcc
.LBB19_202:                             ;   in Loop: Header=BB19_200 Depth=3
	s_andn2_b64 s[54:55], s[54:55], exec
	s_and_b64 s[58:59], s[58:59], exec
	s_mov_b64 vcc, -1
	s_or_b64 s[54:55], s[54:55], s[58:59]
	s_and_saveexec_b64 s[58:59], s[56:57]
	s_cbranch_execz .LBB19_199
; %bb.203:                              ;   in Loop: Header=BB19_200 Depth=3
	s_sleep 1
	s_trap 2
	ds_read_b64 v[0:1], v0
	s_andn2_b64 s[54:55], s[54:55], exec
	s_waitcnt lgkmcnt(0)
	v_cmp_ge_u64_e32 vcc, v[0:1], v[24:25]
	s_orn2_b64 vcc, vcc, exec
	s_branch .LBB19_199
.LBB19_204:                             ;   in Loop: Header=BB19_53 Depth=2
	s_andn2_saveexec_b64 s[46:47], s[46:47]
	s_cbranch_execz .LBB19_193
.LBB19_205:                             ;   in Loop: Header=BB19_53 Depth=2
	s_and_saveexec_b64 s[48:49], s[24:25]
	s_cbranch_execz .LBB19_210
; %bb.206:                              ;   in Loop: Header=BB19_53 Depth=2
	s_mov_b64 s[50:51], exec
	s_mov_b64 s[24:25], s[30:31]
.LBB19_207:                             ;   Parent Loop BB19_4 Depth=1
                                        ;     Parent Loop BB19_53 Depth=2
                                        ; =>    This Inner Loop Header: Depth=3
	s_ff1_i32_b64 s52, s[50:51]
	v_readlane_b32 s53, v51, s52
	v_readlane_b32 s54, v50, s52
	v_mov_b32_e32 v0, s54
	v_mov_b32_e32 v1, s53
	v_cmp_gt_i64_e32 vcc, s[24:25], v[0:1]
	s_and_b64 vcc, vcc, exec
	s_cselect_b32 s25, s25, s53
	s_cselect_b32 s24, s24, s54
	s_lshl_b64 vcc, 1, s52
	s_andn2_b64 s[50:51], s[50:51], vcc
	s_cmp_lg_u64 s[50:51], 0
	s_cbranch_scc1 .LBB19_207
; %bb.208:                              ;   in Loop: Header=BB19_53 Depth=2
	v_mbcnt_lo_u32_b32 v0, exec_lo, 0
	v_mbcnt_hi_u32_b32 v0, exec_hi, v0
	v_cmp_eq_u32_e32 vcc, 0, v0
	s_and_saveexec_b64 s[50:51], vcc
	s_xor_b64 s[50:51], exec, s[50:51]
	s_cbranch_execz .LBB19_210
; %bb.209:                              ;   in Loop: Header=BB19_53 Depth=2
	v_pk_mov_b32 v[0:1], s[24:25], s[24:25] op_sel:[0,1]
	ds_max_i64 v0, v[0:1]
	s_trap 2
.LBB19_210:                             ;   in Loop: Header=BB19_53 Depth=2
	s_or_b64 exec, exec, s[48:49]
	s_or_b64 exec, exec, s[46:47]
	s_and_saveexec_b64 s[24:25], s[16:17]
	s_xor_b64 s[24:25], exec, s[24:25]
	s_cbranch_execnz .LBB19_194
.LBB19_211:                             ;   in Loop: Header=BB19_53 Depth=2
	s_andn2_saveexec_b64 s[24:25], s[24:25]
	s_cbranch_execz .LBB19_221
.LBB19_212:                             ;   in Loop: Header=BB19_53 Depth=2
	s_waitcnt vmcnt(0) lgkmcnt(0)
	buffer_wbinvl1_vol
	s_barrier
	s_or_b64 exec, exec, s[24:25]
	s_and_saveexec_b64 s[24:25], s[26:27]
	s_cbranch_execnz .LBB19_222
.LBB19_213:                             ;   in Loop: Header=BB19_53 Depth=2
	s_or_b64 exec, exec, s[24:25]
	s_and_saveexec_b64 s[24:25], s[28:29]
	s_cbranch_execz .LBB19_215
.LBB19_214:                             ;   in Loop: Header=BB19_53 Depth=2
	flat_load_dwordx2 v[0:1], v[38:39] offset:32
	s_waitcnt vmcnt(0) lgkmcnt(0)
	flat_store_dwordx2 v[0:1], v[36:37] glc slc
.LBB19_215:                             ;   in Loop: Header=BB19_53 Depth=2
	s_or_b64 exec, exec, s[24:25]
	s_or_b64 exec, exec, s[44:45]
	s_and_saveexec_b64 s[24:25], s[22:23]
	s_cbranch_execz .LBB19_52
.LBB19_216:                             ;   in Loop: Header=BB19_53 Depth=2
	ds_write_b32 v0, v16 offset:36
	s_branch .LBB19_52
.LBB19_217:                             ;   in Loop: Header=BB19_53 Depth=2
	s_or_b64 exec, exec, s[50:51]
	s_and_saveexec_b64 vcc, s[52:53]
	s_xor_b64 vcc, exec, vcc
	s_cbranch_execz .LBB19_219
; %bb.218:                              ;   in Loop: Header=BB19_53 Depth=2
	ds_write_b32 v0, v34
	s_trap 2
.LBB19_219:                             ;   in Loop: Header=BB19_53 Depth=2
	s_or_b64 exec, exec, s[48:49]
	;;#ASMSTART
	s_wakeup
	;;#ASMEND
.LBB19_220:                             ;   in Loop: Header=BB19_53 Depth=2
	s_or_b64 exec, exec, s[46:47]
	s_andn2_saveexec_b64 s[24:25], s[24:25]
	s_cbranch_execnz .LBB19_212
.LBB19_221:                             ;   in Loop: Header=BB19_53 Depth=2
	s_or_b64 exec, exec, s[24:25]
	s_and_saveexec_b64 s[24:25], s[26:27]
	s_cbranch_execz .LBB19_213
.LBB19_222:                             ;   in Loop: Header=BB19_53 Depth=2
	flat_load_dwordx2 v[0:1], v[38:39] offset:40
	s_waitcnt vmcnt(0) lgkmcnt(0)
	flat_store_dwordx2 v[0:1], v[36:37] glc slc
	s_or_b64 exec, exec, s[24:25]
	s_and_saveexec_b64 s[24:25], s[28:29]
	s_cbranch_execnz .LBB19_214
	s_branch .LBB19_215
.LBB19_223:                             ;   in Loop: Header=BB19_4 Depth=1
	s_or_b64 exec, exec, s[42:43]
	v_and_b32_e32 v0, 0x800, v44
	v_cmp_eq_u32_e32 vcc, 0, v0
	s_and_b64 s[20:21], exec, vcc
	v_accvgpr_read_b32 v32, a2
	s_mov_b64 exec, s[20:21]
	s_cbranch_execz .LBB19_253
; %bb.224:                              ;   in Loop: Header=BB19_4 Depth=1
	v_and_b32_e32 v0, 48, v44
	v_cmp_ne_u32_e32 vcc, 0, v0
	s_and_saveexec_b64 s[20:21], vcc
	s_cbranch_execz .LBB19_226
; %bb.225:                              ;   in Loop: Header=BB19_4 Depth=1
	v_mov_b32_e32 v0, 0x68
	v_mov_b32_e32 v1, 0
	flat_store_dwordx2 v[0:1], v[36:37]
.LBB19_226:                             ;   in Loop: Header=BB19_4 Depth=1
	s_or_b64 exec, exec, s[20:21]
	v_and_b32_e32 v0, 0x88, v44
	v_cmp_eq_u32_e32 vcc, s66, v0
	s_and_saveexec_b64 s[20:21], vcc
	s_cbranch_execz .LBB19_237
; %bb.227:                              ;   in Loop: Header=BB19_4 Depth=1
	v_add_u32_e32 v0, -1, v36
	v_and_b32_e32 v0, 7, v0
	v_mad_u64_u32 v[0:1], s[22:23], v0, 24, 8
	s_mov_b64 s[22:23], 0
	v_mov_b32_e32 v2, 0
                                        ; implicit-def: $sgpr24_sgpr25
	s_branch .LBB19_232
.LBB19_228:                             ;   in Loop: Header=BB19_232 Depth=2
	s_or_b64 exec, exec, s[46:47]
	v_mov_b32_e32 v3, 0
	s_orn2_b64 s[44:45], s[44:45], exec
.LBB19_229:                             ;   in Loop: Header=BB19_232 Depth=2
	s_or_b64 exec, exec, s[42:43]
	s_and_b64 s[42:43], s[44:45], exec
	v_mov_b32_e32 v2, v3
.LBB19_230:                             ;   in Loop: Header=BB19_232 Depth=2
	s_or_b64 exec, exec, s[28:29]
	s_xor_b64 s[28:29], s[42:43], -1
	s_andn2_b64 s[24:25], s[24:25], exec
	s_and_b64 s[28:29], s[28:29], exec
	s_or_b64 s[24:25], s[24:25], s[28:29]
.LBB19_231:                             ;   in Loop: Header=BB19_232 Depth=2
	s_or_b64 exec, exec, s[26:27]
	s_and_b64 s[26:27], exec, s[24:25]
	s_or_b64 s[22:23], s[26:27], s[22:23]
	s_andn2_b64 exec, exec, s[22:23]
	s_cbranch_execz .LBB19_237
.LBB19_232:                             ;   Parent Loop BB19_4 Depth=1
                                        ; =>  This Inner Loop Header: Depth=2
	flat_load_dwordx2 v[4:5], v[0:1] glc
	s_waitcnt vmcnt(0)
	s_or_b64 s[24:25], s[24:25], exec
	s_waitcnt lgkmcnt(0)
	v_cmp_ne_u64_e32 vcc, -1, v[4:5]
	s_and_saveexec_b64 s[26:27], vcc
	s_cbranch_execz .LBB19_231
; %bb.233:                              ;   in Loop: Header=BB19_232 Depth=2
	v_and_b32_e32 v3, 64, v44
	v_cmp_eq_u32_e32 vcc, 0, v3
	s_mov_b64 s[42:43], 0
	s_and_saveexec_b64 s[28:29], vcc
	s_cbranch_execz .LBB19_230
; %bb.234:                              ;   in Loop: Header=BB19_232 Depth=2
	v_add_u32_e32 v3, 1, v2
	v_cmp_lt_i32_e32 vcc, s34, v2
	s_mov_b64 s[44:45], -1
	s_and_saveexec_b64 s[42:43], vcc
	s_cbranch_execz .LBB19_229
; %bb.235:                              ;   in Loop: Header=BB19_232 Depth=2
	s_trap 2
	ds_read_b64 v[2:3], v0
	s_waitcnt lgkmcnt(0)
	flat_load_dword v2, v[2:3] glc
	s_waitcnt vmcnt(0) lgkmcnt(0)
	buffer_invl2
	buffer_wbinvl1_vol
	v_cmp_ne_u32_e32 vcc, 0, v2
	s_and_saveexec_b64 s[46:47], vcc
	s_cbranch_execz .LBB19_228
; %bb.236:                              ;   in Loop: Header=BB19_232 Depth=2
	v_or_b32_e32 v44, 64, v44
	s_xor_b64 s[44:45], exec, -1
	ds_write_b32 v0, v2
	s_trap 2
	s_branch .LBB19_228
.LBB19_237:                             ;   in Loop: Header=BB19_4 Depth=1
	s_or_b64 exec, exec, s[20:21]
	v_cmp_ne_u32_e32 vcc, 1, v26
	s_and_b64 exec, exec, vcc
	s_cbranch_execz .LBB19_253
; %bb.238:                              ;   in Loop: Header=BB19_4 Depth=1
	s_and_saveexec_b64 s[20:21], s[16:17]
	s_xor_b64 s[16:17], exec, s[20:21]
	s_cbranch_execz .LBB19_251
; %bb.239:                              ;   in Loop: Header=BB19_4 Depth=1
	s_and_saveexec_b64 s[20:21], s[18:19]
	s_cbranch_execz .LBB19_250
; %bb.240:                              ;   in Loop: Header=BB19_4 Depth=1
	v_mov_b32_e32 v0, 1
	v_mov_b32_e32 v1, 0
	s_waitcnt vmcnt(0) lgkmcnt(0)
	buffer_wbinvl1_vol
	ds_add_u64 v0, v[0:1] offset:272
	ds_read_b64 v[0:1], v0 offset:272
	v_ashrrev_i32_e32 v27, 31, v26
	s_waitcnt lgkmcnt(0)
	v_cmp_lt_u64_e32 vcc, v[0:1], v[26:27]
	s_and_saveexec_b64 s[18:19], vcc
	s_cbranch_execz .LBB19_249
; %bb.241:                              ;   in Loop: Header=BB19_4 Depth=1
	s_mov_b32 s44, 0
	s_mov_b64 s[22:23], 0
                                        ; implicit-def: $sgpr24_sgpr25
                                        ; implicit-def: $sgpr26_sgpr27
	s_branch .LBB19_243
.LBB19_242:                             ;   in Loop: Header=BB19_243 Depth=2
	s_or_b64 exec, exec, s[42:43]
	s_and_b64 s[28:29], exec, vcc
	s_or_b64 s[22:23], s[28:29], s[22:23]
	s_andn2_b64 s[24:25], s[24:25], exec
	s_and_b64 s[28:29], s[26:27], exec
	s_or_b64 s[24:25], s[24:25], s[28:29]
	s_andn2_b64 exec, exec, s[22:23]
	s_cbranch_execz .LBB19_247
.LBB19_243:                             ;   Parent Loop BB19_4 Depth=1
                                        ; =>  This Inner Loop Header: Depth=2
	s_add_i32 s44, s44, 1
	s_cmpk_lg_i32 s44, 0x2710
	s_cselect_b64 s[28:29], -1, 0
	s_and_b64 vcc, exec, s[28:29]
                                        ; implicit-def: $sgpr42_sgpr43
	s_cbranch_vccnz .LBB19_245
; %bb.244:                              ;   in Loop: Header=BB19_243 Depth=2
	s_trap 2
	ds_read_b64 v[0:1], v0
	s_andn2_b64 s[28:29], s[28:29], exec
	s_mov_b32 s44, 0
	s_mov_b64 s[42:43], -1
	s_waitcnt lgkmcnt(0)
	flat_load_dword v0, v[0:1] glc
	s_waitcnt vmcnt(0) lgkmcnt(0)
	buffer_invl2
	buffer_wbinvl1_vol
	v_cmp_eq_u32_e32 vcc, 0, v0
	s_and_b64 vcc, vcc, exec
	s_or_b64 s[28:29], s[28:29], vcc
.LBB19_245:                             ;   in Loop: Header=BB19_243 Depth=2
	s_andn2_b64 s[26:27], s[26:27], exec
	s_and_b64 s[42:43], s[42:43], exec
	s_mov_b64 vcc, -1
	s_or_b64 s[26:27], s[26:27], s[42:43]
	s_and_saveexec_b64 s[42:43], s[28:29]
	s_cbranch_execz .LBB19_242
; %bb.246:                              ;   in Loop: Header=BB19_243 Depth=2
	s_sleep 1
	ds_read_b64 v[0:1], v0 offset:272
	s_andn2_b64 s[26:27], s[26:27], exec
	s_waitcnt lgkmcnt(0)
	v_cmp_ge_u64_e32 vcc, v[0:1], v[26:27]
	s_orn2_b64 vcc, vcc, exec
	s_branch .LBB19_242
.LBB19_247:                             ;   in Loop: Header=BB19_4 Depth=1
	s_or_b64 exec, exec, s[22:23]
	s_and_saveexec_b64 s[22:23], s[24:25]
	s_xor_b64 s[22:23], exec, s[22:23]
	s_cbranch_execz .LBB19_249
; %bb.248:                              ;   in Loop: Header=BB19_4 Depth=1
	ds_write_b32 v0, v34
	s_trap 2
.LBB19_249:                             ;   in Loop: Header=BB19_4 Depth=1
	s_or_b64 exec, exec, s[18:19]
	;;#ASMSTART
	s_wakeup
	;;#ASMEND
.LBB19_250:                             ;   in Loop: Header=BB19_4 Depth=1
	s_or_b64 exec, exec, s[20:21]
.LBB19_251:                             ;   in Loop: Header=BB19_4 Depth=1
	s_andn2_saveexec_b64 s[16:17], s[16:17]
	s_cbranch_execz .LBB19_253
; %bb.252:                              ;   in Loop: Header=BB19_4 Depth=1
	s_waitcnt vmcnt(0) lgkmcnt(0)
	buffer_wbinvl1_vol
	s_barrier
.LBB19_253:                             ;   in Loop: Header=BB19_4 Depth=1
	s_or_b64 exec, exec, s[40:41]
                                        ; implicit-def: $vgpr2_vgpr3
                                        ; implicit-def: $vgpr6
                                        ; implicit-def: $vgpr4_vgpr5
                                        ; implicit-def: $vgpr10_vgpr11
                                        ; implicit-def: $vgpr8_vgpr9
.LBB19_254:                             ;   in Loop: Header=BB19_4 Depth=1
	s_andn2_saveexec_b64 s[16:17], s[38:39]
	s_cbranch_execz .LBB19_3
; %bb.255:                              ;   in Loop: Header=BB19_4 Depth=1
	v_add_co_u32_e32 v1, vcc, v6, v4
	v_addc_co_u32_e32 v4, vcc, v7, v5, vcc
	v_add_co_u32_e32 v5, vcc, v8, v2
	v_and_b32_e32 v0, 0x3ffffe00, v10
	v_addc_co_u32_e32 v6, vcc, v9, v3, vcc
	buffer_store_dword v9, off, s[0:3], s32 offset:60
	buffer_store_dword v8, off, s[0:3], s32 offset:56
	;; [unrolled: 1-line block ×7, first 2 shown]
	v_mov_b32_e32 v1, s71
	buffer_store_dword v1, off, s[0:3], s32 offset:92
	v_mov_b32_e32 v1, s72
	buffer_store_dword v1, off, s[0:3], s32 offset:88
	v_sub_u32_e64 v1, s71, 1 clamp
	v_readfirstlane_b32 s16, v1
	s_flbit_i32_b32 s16, s16
	s_sub_i32 s16, 32, s16
	s_lshl_b32 s16, 1, s16
	s_cmp_gt_u32 s71, 1
	s_cselect_b32 s22, s16, 1
	s_lshr_b32 s16, s71, 31
	v_mov_b32_e32 v1, s22
	s_add_i32 s71, s71, s16
	buffer_store_dword v1, off, s[0:3], s32 offset:96
	buffer_store_dword v1, off, s[0:3], s32 offset:124
	;; [unrolled: 1-line block ×4, first 2 shown]
	v_mov_b32_e32 v1, v16
	s_ashr_i32 s21, s71, 1
	s_mov_b32 s23, 1
	s_branch .LBB19_257
.LBB19_256:                             ;   in Loop: Header=BB19_257 Depth=2
	s_andn2_b64 vcc, exec, s[18:19]
	s_cbranch_vccz .LBB19_261
.LBB19_257:                             ;   Parent Loop BB19_4 Depth=1
                                        ; =>  This Inner Loop Header: Depth=2
	s_mov_b32 s24, s23
	s_ashr_i32 s16, s23, 31
	v_mul_hi_u32 v4, v2, s24
	v_mul_lo_u32 v5, v2, s16
	v_add_u32_e32 v4, v4, v5
	v_mul_lo_u32 v5, v3, s24
	v_add_u32_e32 v5, v4, v5
	v_mul_lo_u32 v4, v2, s24
	v_cmp_lt_u64_e32 vcc, v[0:1], v[4:5]
	s_mov_b32 s20, s22
	v_pk_mov_b32 v[6:7], 0, 0
	s_cbranch_vccnz .LBB19_259
; %bb.258:                              ;   in Loop: Header=BB19_257 Depth=2
	v_cvt_f32_u32_e32 v5, v4
	v_sub_u32_e32 v6, 0, v4
	v_rcp_iflag_f32_e32 v5, v5
	v_mul_f32_e32 v5, 0x4f7ffffe, v5
	v_cvt_u32_f32_e32 v5, v5
	v_mul_lo_u32 v6, v6, v5
	v_mul_hi_u32 v6, v5, v6
	v_add_u32_e32 v5, v5, v6
	v_mul_hi_u32 v5, v0, v5
	v_mul_lo_u32 v7, v5, v4
	v_sub_u32_e32 v7, v0, v7
	v_add_u32_e32 v6, 1, v5
	v_sub_u32_e32 v8, v7, v4
	v_cmp_ge_u32_e32 vcc, v7, v4
	v_cndmask_b32_e32 v7, v7, v8, vcc
	v_cndmask_b32_e32 v5, v5, v6, vcc
	v_add_u32_e32 v6, 1, v5
	v_cmp_ge_u32_e32 vcc, v7, v4
	v_cndmask_b32_e32 v6, v5, v6, vcc
	v_mov_b32_e32 v7, v16
.LBB19_259:                             ;   in Loop: Header=BB19_257 Depth=2
	s_cmp_lt_i32 s24, s21
	s_cselect_b64 s[16:17], -1, 0
	s_cmp_ge_i32 s24, s21
	v_cmp_gt_u64_e32 vcc, 2, v[6:7]
	s_cselect_b64 s[22:23], -1, 0
	s_or_b64 s[22:23], s[22:23], vcc
	s_mov_b64 s[18:19], -1
	s_and_b64 vcc, exec, s[22:23]
                                        ; implicit-def: $sgpr23
                                        ; implicit-def: $sgpr22
	s_cbranch_vccnz .LBB19_256
; %bb.260:                              ;   in Loop: Header=BB19_257 Depth=2
	s_lshr_b32 s18, s20, 31
	s_lshl_b32 s23, s24, 1
	s_add_i32 s18, s20, s18
	v_mov_b32_e32 v4, s23
	s_ashr_i32 s22, s18, 1
	buffer_store_dword v4, off, s[0:3], s32 offset:112
	v_mov_b32_e32 v4, s22
	s_mov_b64 s[18:19], 0
	buffer_store_dword v4, off, s[0:3], s32 offset:124
	s_branch .LBB19_256
.LBB19_261:                             ;   in Loop: Header=BB19_4 Depth=1
	v_mov_b32_e32 v4, s24
	s_cmp_gt_i32 s24, 1
	s_mov_b32 s25, 2
	buffer_store_dword v4, off, s[0:3], s32 offset:100
	s_cbranch_scc1 .LBB19_263
; %bb.262:                              ;   in Loop: Header=BB19_4 Depth=1
	v_mov_b32_e32 v4, s24
	s_mov_b32 s25, s24
	buffer_store_dword v4, off, s[0:3], s32 offset:108
.LBB19_263:                             ;   in Loop: Header=BB19_4 Depth=1
	s_andn2_b64 vcc, exec, s[16:17]
	s_cbranch_vccnz .LBB19_268
; %bb.264:                              ;   in Loop: Header=BB19_4 Depth=1
	s_lshr_b32 s17, s20, 31
	s_lshl_b32 s16, s24, 1
	s_add_i32 s17, s20, s17
	v_mov_b32_e32 v4, s16
	s_ashr_i32 s17, s17, 1
	buffer_store_dword v4, off, s[0:3], s32 offset:112
	v_mov_b32_e32 v4, s17
	s_cmp_ge_i32 s16, s21
	buffer_store_dword v4, off, s[0:3], s32 offset:124
	s_cbranch_scc1 .LBB19_267
; %bb.265:                              ;   in Loop: Header=BB19_4 Depth=1
	s_ashr_i32 s18, s20, 31
	s_lshr_b32 s17, s18, 30
	s_lshl_b32 s16, s24, 2
	s_add_i32 s17, s20, s17
	v_mov_b32_e32 v4, s16
	s_ashr_i32 s17, s17, 2
	buffer_store_dword v4, off, s[0:3], s32 offset:112
	v_mov_b32_e32 v4, s17
	s_cmp_ge_i32 s16, s21
	buffer_store_dword v4, off, s[0:3], s32 offset:124
	s_cbranch_scc1 .LBB19_267
; %bb.266:                              ;   in Loop: Header=BB19_4 Depth=1
	s_lshr_b32 s17, s18, 29
	s_lshl_b32 s16, s24, 3
	s_add_i32 s17, s20, s17
	v_mov_b32_e32 v4, s16
	s_ashr_i32 s17, s17, 3
	buffer_store_dword v4, off, s[0:3], s32 offset:112
	v_mov_b32_e32 v4, s17
	buffer_store_dword v4, off, s[0:3], s32 offset:124
.LBB19_267:                             ;   in Loop: Header=BB19_4 Depth=1
	s_mov_b32 s24, s16
	s_mov_b32 s20, s17
.LBB19_268:                             ;   in Loop: Header=BB19_4 Depth=1
	v_sub_u32_e64 v4, s20, 1 clamp
	v_readfirstlane_b32 s16, v4
	s_flbit_i32_b32 s16, s16
	s_sub_i32 s18, 32, s16
	s_cmp_lt_u32 s20, 2
	s_cselect_b64 s[16:17], -1, 0
	s_and_b64 vcc, s[16:17], exec
	v_cmp_lt_i64_e64 s[16:17], v[0:1], v[2:3]
	s_cselect_b32 s27, 0, s18
	v_cndmask_b32_e64 v0, v2, v0, s[16:17]
	s_lshr_b32 s16, s24, 31
	s_add_i32 s16, s24, s16
	s_ashr_i32 s26, s16, 1
	s_add_i32 s16, s24, -2
	s_cmp_lt_u32 s16, -3
	s_cselect_b64 s[16:17], -1, 0
	s_and_b64 s[18:19], s[16:17], exec
	buffer_store_dword v0, off, s[0:3], s32 offset:84
	v_mov_b32_e32 v0, s26
	s_cselect_b32 s18, 2, 1
	v_mov_b32_e32 v4, s27
	buffer_store_dword v0, off, s[0:3], s32 offset:128
	v_mov_b32_e32 v0, s18
	buffer_store_dword v4, off, s[0:3], s32 offset:136
	buffer_store_dword v0, off, s[0:3], s32 offset:132
	;; [unrolled: 1-line block ×3, first 2 shown]
	v_mov_b32_e32 v0, 0
	s_cbranch_vccnz .LBB19_284
; %bb.269:                              ;   in Loop: Header=BB19_4 Depth=1
	s_cmp_gt_u32 s27, 1
	s_cbranch_scc0 .LBB19_273
; %bb.270:                              ;   in Loop: Header=BB19_4 Depth=1
	s_and_b32 s20, s27, 62
	s_mov_b32 s18, s27
	s_mov_b32 s19, 1
	;; [unrolled: 1-line block ×4, first 2 shown]
	v_mov_b32_e32 v0, v31
.LBB19_271:                             ;   Parent Loop BB19_4 Depth=1
                                        ; =>  This Inner Loop Header: Depth=2
	s_sub_i32 s28, s18, s19
	s_sub_i32 s23, s27, s21
	s_add_i32 s21, s21, 2
	s_add_i32 s19, s19, 2
	s_add_i32 s22, s22, -2
	v_mov_b32_e32 v1, s28
	buffer_store_dword v34, v0, s[0:3], 0 offen offset:132
	buffer_store_dword v34, v0, s[0:3], 0 offen offset:128
	v_mov_b32_e32 v2, s23
	s_cmp_lg_u32 s22, 0
	buffer_store_dword v1, v0, s[0:3], 0 offen offset:4
	buffer_store_dword v2, v0, s[0:3], 0 offen
	v_add_u32_e32 v0, 8, v0
	s_cbranch_scc1 .LBB19_271
; %bb.272:                              ;   in Loop: Header=BB19_4 Depth=1
	s_cmp_lg_u32 s27, s20
	s_cselect_b64 s[18:19], -1, 0
	s_and_b64 vcc, exec, s[18:19]
	s_cbranch_vccnz .LBB19_274
	s_branch .LBB19_276
.LBB19_273:                             ;   in Loop: Header=BB19_4 Depth=1
	s_mov_b32 s20, 0
	s_cbranch_execz .LBB19_276
.LBB19_274:                             ;   in Loop: Header=BB19_4 Depth=1
	s_lshl_b32 s18, s20, 2
	v_add_u32_e32 v0, s18, v31
	s_sub_i32 s18, s27, s20
.LBB19_275:                             ;   Parent Loop BB19_4 Depth=1
                                        ; =>  This Inner Loop Header: Depth=2
	v_mov_b32_e32 v1, s18
	s_add_i32 s18, s18, -1
	buffer_store_dword v34, v0, s[0:3], 0 offen offset:128
	buffer_store_dword v1, v0, s[0:3], 0 offen
	s_cmp_eq_u32 s18, 0
	v_add_u32_e32 v0, 4, v0
	s_cbranch_scc0 .LBB19_275
.LBB19_276:                             ;   in Loop: Header=BB19_4 Depth=1
	s_mov_b32 s28, 0
	v_mov_b32_e32 v0, 0
	v_mov_b32_e32 v1, v31
	s_branch .LBB19_280
.LBB19_277:                             ;   in Loop: Header=BB19_280 Depth=2
	s_or_b64 exec, exec, s[22:23]
	v_add_u32_e32 v0, 1, v3
	buffer_store_dword v0, v1, s[0:3], 0 offen offset:128
.LBB19_278:                             ;   in Loop: Header=BB19_280 Depth=2
	s_or_b64 exec, exec, s[20:21]
	v_mov_b32_e32 v0, v2
.LBB19_279:                             ;   in Loop: Header=BB19_280 Depth=2
	s_or_b64 exec, exec, s[18:19]
	s_add_i32 s28, s28, 1
	s_cmp_lg_u32 s27, s28
	v_add_u32_e32 v1, 4, v1
	s_cbranch_scc0 .LBB19_284
.LBB19_280:                             ;   Parent Loop BB19_4 Depth=1
                                        ; =>  This Inner Loop Header: Depth=2
	buffer_load_dword v2, v1, s[0:3], 0 offen
	s_waitcnt vmcnt(0)
	v_add_u32_e32 v2, -1, v2
	v_cmp_eq_u32_e32 vcc, 0, v2
	buffer_store_dword v2, v1, s[0:3], 0 offen
	s_and_saveexec_b64 s[18:19], vcc
	s_cbranch_execz .LBB19_279
; %bb.281:                              ;   in Loop: Header=BB19_280 Depth=2
	s_lshl_b32 s29, 1, s28
	v_xor_b32_e32 v2, s29, v0
	v_mov_b32_e32 v3, s29
	buffer_store_dword v2, off, s[0:3], s32 offset:140
	buffer_store_dword v3, v1, s[0:3], 0 offen
	v_and_b32_e32 v3, s29, v0
	v_cmp_ne_u32_e32 vcc, 0, v3
	s_and_saveexec_b64 s[20:21], vcc
	s_cbranch_execz .LBB19_278
; %bb.282:                              ;   in Loop: Header=BB19_280 Depth=2
	buffer_load_dword v3, v1, s[0:3], 0 offen offset:128
	v_mov_b32_e32 v4, s27
	s_waitcnt vmcnt(0)
	v_ffbl_b32_e32 v5, v3
	v_cmp_eq_u32_e32 vcc, 0, v3
	v_cndmask_b32_e32 v4, v5, v4, vcc
	v_add3_u32 v4, s29, -1, v4
	v_cmp_eq_u32_e32 vcc, 0, v4
	buffer_store_dword v4, v1, s[0:3], 0 offen
	s_and_saveexec_b64 s[22:23], vcc
	s_cbranch_execz .LBB19_277
; %bb.283:                              ;   in Loop: Header=BB19_280 Depth=2
	v_mov_b32_e32 v2, s29
	buffer_store_dword v0, off, s[0:3], s32 offset:140
	buffer_store_dword v2, v1, s[0:3], 0 offen
	v_mov_b32_e32 v2, v0
	s_branch .LBB19_277
.LBB19_284:                             ;   in Loop: Header=BB19_4 Depth=1
	s_andn2_b64 vcc, exec, s[16:17]
	buffer_store_dword v0, off, s[0:3], s32 offset:116
	buffer_store_dword v16, off, s[0:3], s32 offset:120
	s_cbranch_vccnz .LBB19_286
; %bb.285:                              ;   in Loop: Header=BB19_4 Depth=1
	s_lshl_b32 s16, s26, 1
	s_ashr_i32 s17, s26, 31
	s_add_i32 s16, s16, s17
	s_xor_b32 s16, s16, s17
	v_cvt_f32_u32_e32 v0, s16
	s_ashr_i32 s18, s24, 31
	s_xor_b32 s17, s18, s17
	s_sub_i32 s18, 0, s16
	v_rcp_iflag_f32_e32 v0, v0
	s_abs_i32 s19, s24
	v_mul_f32_e32 v0, 0x4f7ffffe, v0
	v_cvt_u32_f32_e32 v0, v0
	v_readfirstlane_b32 s20, v0
	s_mul_i32 s18, s18, s20
	s_mul_hi_u32 s18, s20, s18
	s_add_i32 s20, s20, s18
	s_mul_hi_u32 s18, s19, s20
	s_mul_i32 s20, s18, s16
	s_sub_i32 s19, s19, s20
	s_add_i32 s21, s18, 1
	s_sub_i32 s20, s19, s16
	s_cmp_ge_u32 s19, s16
	s_cselect_b32 s18, s21, s18
	s_cselect_b32 s19, s20, s19
	s_add_i32 s20, s18, 1
	s_cmp_ge_u32 s19, s16
	s_cselect_b32 s16, s20, s18
	s_xor_b32 s16, s16, s17
	s_sub_i32 s24, s16, s17
.LBB19_286:                             ;   in Loop: Header=BB19_4 Depth=1
	v_mov_b32_e32 v0, s24
	buffer_store_dword v0, off, s[0:3], s32 offset:104
	v_mov_b32_e32 v0, s25
	s_mov_b32 s50, 0
	s_mov_b64 s[26:27], 0
	ds_write_b32 v0, v0
	s_trap 2
	s_branch .LBB19_289
.LBB19_287:                             ;   in Loop: Header=BB19_289 Depth=2
	s_or_b64 exec, exec, s[16:17]
	s_andn2_b64 s[22:23], s[22:23], exec
.LBB19_288:                             ;   in Loop: Header=BB19_289 Depth=2
	s_or_b64 exec, exec, s[20:21]
	s_add_i32 s50, s50, 1
	s_and_b64 s[16:17], exec, s[22:23]
	v_cndmask_b32_e64 v0, 1, 3, s[18:19]
	s_or_b64 s[26:27], s[16:17], s[26:27]
	ds_write_b32 v0, v0 offset:36
	s_andn2_b64 exec, exec, s[26:27]
	s_cbranch_execz .LBB19_2
.LBB19_289:                             ;   Parent Loop BB19_4 Depth=1
                                        ; =>  This Loop Header: Depth=2
                                        ;       Child Loop BB19_290 Depth 3
                                        ;       Child Loop BB19_352 Depth 3
	;; [unrolled: 1-line block ×5, first 2 shown]
	s_trap 2
.LBB19_290:                             ;   Parent Loop BB19_4 Depth=1
                                        ;     Parent Loop BB19_289 Depth=2
                                        ; =>    This Inner Loop Header: Depth=3
	ds_read_b32 v0, v0 offset:36
	s_waitcnt lgkmcnt(0)
	v_cmp_ne_u32_e32 vcc, 0, v0
	s_cbranch_vccnz .LBB19_290
; %bb.291:                              ;   in Loop: Header=BB19_289 Depth=2
	buffer_load_dword v0, off, s[0:3], s32 offset:56
	buffer_load_dword v1, off, s[0:3], s32 offset:60
	;; [unrolled: 1-line block ×6, first 2 shown]
	s_mov_b64 s[18:19], -1
	s_waitcnt vmcnt(0)
	ds_write2_b32 v0, v5, v16 offset0:7 offset1:8
	ds_write_b64 v0, v[0:1] offset:40
	v_cmp_lt_i32_e32 vcc, v7, v8
	s_and_saveexec_b64 s[28:29], vcc
	s_cbranch_execz .LBB19_327
; %bb.292:                              ;   in Loop: Header=BB19_289 Depth=2
	v_cmp_lt_i32_e32 vcc, 0, v6
                                        ; implicit-def: $sgpr16_sgpr17
	s_and_saveexec_b64 s[18:19], vcc
	s_xor_b64 s[38:39], exec, s[18:19]
	s_cbranch_execz .LBB19_320
; %bb.293:                              ;   in Loop: Header=BB19_289 Depth=2
	v_cmp_lt_i32_e32 vcc, 1, v6
                                        ; implicit-def: $sgpr40_sgpr41
	s_and_saveexec_b64 s[16:17], vcc
	s_xor_b64 s[20:21], exec, s[16:17]
	s_cbranch_execz .LBB19_305
; %bb.294:                              ;   in Loop: Header=BB19_289 Depth=2
	v_cmp_eq_u32_e32 vcc, 2, v6
	s_mov_b64 s[16:17], 0
	s_and_saveexec_b64 s[22:23], vcc
	s_cbranch_execz .LBB19_304
; %bb.295:                              ;   in Loop: Header=BB19_289 Depth=2
	buffer_load_dword v4, off, s[0:3], s32 offset:100
	buffer_load_dword v2, off, s[0:3], s32 offset:124
	;; [unrolled: 1-line block ×3, first 2 shown]
	v_sub_u32_e32 v12, 0, v7
	v_max_i32_e32 v17, v7, v12
	v_lshlrev_b32_e32 v10, 1, v7
	v_ashrrev_i32_e32 v13, 31, v7
	v_or_b32_e32 v14, 1, v10
                                        ; implicit-def: $sgpr16_sgpr17
	s_waitcnt vmcnt(2)
	v_sub_u32_e32 v9, 0, v4
	v_max_i32_e32 v9, v4, v9
	v_cvt_f32_u32_e32 v11, v9
	s_waitcnt vmcnt(0)
	v_mul_lo_u32 v12, v2, v3
	v_rcp_iflag_f32_e32 v15, v11
	v_ashrrev_i32_e32 v11, 31, v4
	v_mul_f32_e32 v2, 0x4f7ffffe, v15
	v_cvt_u32_f32_e32 v3, v2
	v_mul_lo_u32 v2, v12, v14
	v_xor_b32_e32 v14, v13, v11
	v_sub_u32_e32 v13, 0, v9
	v_mul_lo_u32 v13, v13, v3
	v_mul_hi_u32 v13, v3, v13
	v_add_u32_e32 v13, v3, v13
	v_mul_hi_u32 v3, v17, v13
	v_mul_lo_u32 v15, v3, v9
	v_sub_u32_e32 v15, v17, v15
	v_add_u32_e32 v18, 1, v3
	v_cmp_ge_u32_e32 vcc, v15, v9
	v_sub_u32_e32 v17, v15, v9
	v_cndmask_b32_e32 v3, v3, v18, vcc
	v_cndmask_b32_e32 v15, v15, v17, vcc
	v_add_u32_e32 v17, 1, v3
	v_cmp_ge_u32_e32 vcc, v15, v9
	v_cndmask_b32_e32 v3, v3, v17, vcc
	v_xor_b32_e32 v3, v3, v14
	v_sub_u32_e32 v3, v3, v14
	v_mul_lo_u32 v14, v3, v4
	v_sub_u32_e32 v15, v7, v14
	v_add_u32_e32 v14, -1, v4
	v_cmp_ne_u32_e32 vcc, v15, v14
                                        ; implicit-def: $vgpr14
	s_and_saveexec_b64 s[18:19], vcc
	s_xor_b64 s[18:19], exec, s[18:19]
	s_cbranch_execz .LBB19_297
; %bb.296:                              ;   in Loop: Header=BB19_289 Depth=2
	buffer_load_dword v14, off, s[0:3], s32 offset:92
	v_lshl_add_u32 v17, v12, 1, v2
	s_waitcnt vmcnt(0)
	v_cmp_ge_i32_e32 vcc, v17, v14
	s_and_b64 s[16:17], vcc, exec
.LBB19_297:                             ;   in Loop: Header=BB19_289 Depth=2
	s_andn2_saveexec_b64 s[18:19], s[18:19]
	s_cbranch_execz .LBB19_299
; %bb.298:                              ;   in Loop: Header=BB19_289 Depth=2
	buffer_load_dword v14, off, s[0:3], s32 offset:92
	s_or_b64 s[16:17], s[16:17], exec
.LBB19_299:                             ;   in Loop: Header=BB19_289 Depth=2
	s_or_b64 exec, exec, s[18:19]
	buffer_load_dword v17, off, s[0:3], s32 offset:96
	buffer_load_dword v18, off, s[0:3], s32 offset:88
	;; [unrolled: 1-line block ×4, first 2 shown]
	s_waitcnt vmcnt(4)
	v_sub_u32_e32 v21, 0, v14
	v_max_i32_e32 v21, v14, v21
	v_cvt_f32_u32_e32 v22, v21
	v_cndmask_b32_e64 v23, 0, 1, s[16:17]
	v_mul_lo_u32 v15, v15, v5
	ds_write2_b32 v0, v16, v23 offset0:5 offset1:6
	ds_write2_b32 v0, v15, v3 offset0:3 offset1:4
	v_rcp_iflag_f32_e32 v22, v22
	v_sub_u32_e32 v3, 0, v21
	v_ffbl_b32_e32 v24, v2
	v_cmp_eq_u32_e64 s[16:17], 0, v12
	v_mul_f32_e32 v22, 0x4f7ffffe, v22
	v_cvt_u32_f32_e32 v22, v22
	v_cmp_ge_i32_e32 vcc, v2, v14
                                        ; implicit-def: $sgpr24_sgpr25
	v_mul_lo_u32 v3, v3, v22
	v_mul_hi_u32 v3, v22, v3
	v_add_u32_e32 v15, v22, v3
	s_waitcnt vmcnt(3)
	v_cndmask_b32_e64 v3, v24, v17, s[16:17]
	v_lshl_add_u32 v2, -1, v3, v2
	s_waitcnt vmcnt(2)
	v_add3_u32 v14, v2, v14, v18
	v_sub_u32_e32 v18, 0, v14
	v_ashrrev_i32_e32 v17, 31, v14
	v_max_i32_e32 v14, v14, v18
	v_mul_hi_u32 v15, v14, v15
	v_mul_lo_u32 v15, v15, v21
	v_sub_u32_e32 v14, v14, v15
	v_sub_u32_e32 v15, v14, v21
	v_cmp_ge_u32_e64 s[18:19], v14, v21
	v_cndmask_b32_e64 v14, v14, v15, s[18:19]
	v_sub_u32_e32 v15, v14, v21
	v_cmp_ge_u32_e64 s[18:19], v14, v21
	v_cndmask_b32_e64 v14, v14, v15, s[18:19]
	v_xor_b32_e32 v14, v14, v17
	v_sub_u32_e32 v14, v14, v17
	v_ashrrev_i32_e32 v17, 31, v14
	s_waitcnt vmcnt(1)
	v_mul_lo_u32 v18, v19, v14
	s_waitcnt vmcnt(0)
	v_mad_u64_u32 v[14:15], s[18:19], v20, v14, v[0:1]
	v_mul_lo_u32 v17, v20, v17
	v_cmp_ne_u32_e64 s[16:17], 0, v2
	v_add3_u32 v15, v18, v15, v17
	v_ffbl_b32_e32 v2, v2
	ds_write2_b64 v0, v[2:3], v[14:15] offset1:6
	s_and_saveexec_b64 s[18:19], s[16:17]
	s_xor_b64 s[18:19], exec, s[18:19]
	s_cbranch_execz .LBB19_301
; %bb.300:                              ;   in Loop: Header=BB19_289 Depth=2
	v_mul_lo_u32 v3, v12, v10
	v_add_u32_e32 v2, 1, v2
	v_ashrrev_i32_e32 v2, v2, v3
	v_sub_u32_e32 v10, 0, v2
	v_ashrrev_i32_e32 v3, 31, v2
	v_max_i32_e32 v10, v2, v10
	v_xor_b32_e32 v3, v3, v11
	v_mul_hi_u32 v11, v10, v13
	v_mul_lo_u32 v12, v11, v9
	v_sub_u32_e32 v10, v10, v12
	v_add_u32_e32 v12, 1, v11
	v_cmp_ge_u32_e64 s[16:17], v10, v9
	v_cndmask_b32_e64 v11, v11, v12, s[16:17]
	v_sub_u32_e32 v12, v10, v9
	v_cndmask_b32_e64 v10, v10, v12, s[16:17]
	v_add_u32_e32 v12, 1, v11
	v_cmp_ge_u32_e64 s[16:17], v10, v9
	v_cndmask_b32_e64 v9, v11, v12, s[16:17]
	v_xor_b32_e32 v9, v9, v3
	v_sub_u32_e32 v3, v9, v3
	v_mul_lo_u32 v4, v3, v4
	v_sub_u32_e32 v2, v2, v4
	v_mul_lo_u32 v2, v2, v5
	ds_write2_b32 v0, v2, v3 offset0:2 offset1:4
	s_and_b64 s[24:25], vcc, exec
.LBB19_301:                             ;   in Loop: Header=BB19_289 Depth=2
	s_andn2_saveexec_b64 s[16:17], s[18:19]
	s_cbranch_execz .LBB19_303
; %bb.302:                              ;   in Loop: Header=BB19_289 Depth=2
	s_andn2_b64 s[18:19], s[24:25], exec
	s_and_b64 s[24:25], vcc, exec
	s_or_b64 s[24:25], s[18:19], s[24:25]
	ds_write_b32 v0, v48 offset:8
.LBB19_303:                             ;   in Loop: Header=BB19_289 Depth=2
	s_or_b64 exec, exec, s[16:17]
	s_and_b64 s[16:17], s[24:25], exec
.LBB19_304:                             ;   in Loop: Header=BB19_289 Depth=2
	s_or_b64 exec, exec, s[22:23]
	s_and_b64 s[40:41], s[16:17], exec
                                        ; implicit-def: $vgpr5
.LBB19_305:                             ;   in Loop: Header=BB19_289 Depth=2
	s_andn2_saveexec_b64 s[42:43], s[20:21]
	s_cbranch_execz .LBB19_319
; %bb.306:                              ;   in Loop: Header=BB19_289 Depth=2
	buffer_load_dword v2, off, s[0:3], s32 offset:124
	buffer_load_dword v9, off, s[0:3], s32 offset:92
	;; [unrolled: 1-line block ×8, first 2 shown]
	v_sub_u32_e32 v11, 0, v7
	v_ashrrev_i32_e32 v12, 31, v7
	v_max_i32_e32 v22, v7, v11
	s_waitcnt vmcnt(7)
	v_mul_lo_u32 v17, v2, v7
	s_waitcnt vmcnt(6)
	v_sub_u32_e32 v19, 0, v9
	s_waitcnt vmcnt(5)
	v_sub_u32_e32 v20, 0, v10
	v_max_i32_e32 v23, v9, v19
	v_max_i32_e32 v19, v10, v20
	v_cvt_f32_u32_e32 v25, v23
	v_cvt_f32_u32_e32 v27, v19
	v_ashrrev_i32_e32 v18, 31, v10
	s_waitcnt vmcnt(4)
	v_add_u32_e32 v11, v17, v4
	v_rcp_iflag_f32_e32 v25, v25
	v_rcp_iflag_f32_e32 v27, v27
	v_xor_b32_e32 v24, v12, v18
	v_ffbl_b32_e32 v12, v11
	v_cmp_eq_u32_e32 vcc, 0, v11
	s_waitcnt vmcnt(3)
	v_cndmask_b32_e32 v3, v12, v3, vcc
	v_mul_f32_e32 v25, 0x4f7ffffe, v25
	v_mul_f32_e32 v27, 0x4f7ffffe, v27
	v_lshlrev_b32_e64 v20, v3, -1
	v_cvt_u32_f32_e32 v25, v25
	v_cvt_u32_f32_e32 v27, v27
	v_add_u32_e32 v12, v20, v11
	s_waitcnt vmcnt(2)
	v_add3_u32 v21, v21, v9, v12
	v_sub_u32_e32 v26, 0, v23
	v_sub_u32_e32 v28, 0, v19
	v_sub_u32_e32 v30, 0, v21
	v_ashrrev_i32_e32 v29, 31, v21
	v_max_i32_e32 v30, v21, v30
	v_mul_lo_u32 v21, v26, v25
	v_mul_lo_u32 v26, v28, v27
	v_mul_hi_u32 v21, v25, v21
	v_mul_hi_u32 v26, v27, v26
	v_add_u32_e32 v25, v25, v21
	v_add_u32_e32 v21, v27, v26
	v_mul_hi_u32 v26, v22, v21
	v_mul_lo_u32 v27, v26, v19
	v_mul_hi_u32 v25, v30, v25
	v_sub_u32_e32 v22, v22, v27
	v_mul_lo_u32 v25, v25, v23
	v_add_u32_e32 v28, 1, v26
	v_cmp_ge_u32_e32 vcc, v22, v19
	v_sub_u32_e32 v25, v30, v25
	v_cndmask_b32_e32 v26, v26, v28, vcc
	v_sub_u32_e32 v28, v22, v19
	v_sub_u32_e32 v27, v25, v23
	v_cmp_ge_u32_e64 s[24:25], v25, v23
	v_cndmask_b32_e32 v22, v22, v28, vcc
	v_cndmask_b32_e64 v25, v25, v27, s[24:25]
	v_add_u32_e32 v27, 1, v26
	v_cmp_ge_u32_e32 vcc, v22, v19
	v_sub_u32_e32 v28, v25, v23
	v_cndmask_b32_e32 v22, v26, v27, vcc
	v_cmp_ge_u32_e32 vcc, v25, v23
	v_cndmask_b32_e32 v23, v25, v28, vcc
	v_xor_b32_e32 v22, v22, v24
	v_xor_b32_e32 v23, v23, v29
	v_sub_u32_e32 v22, v22, v24
	v_sub_u32_e32 v23, v23, v29
	v_mul_lo_u32 v26, v22, v10
	v_add_u32_e32 v13, -1, v10
	v_add_u32_e32 v2, v11, v2
	v_ashrrev_i32_e32 v27, 31, v23
	s_waitcnt vmcnt(1)
	v_mul_lo_u32 v15, v15, v23
	s_waitcnt vmcnt(0)
	v_mad_u64_u32 v[24:25], s[24:25], v14, v23, v[0:1]
	v_sub_u32_e32 v23, v7, v26
	v_cmp_ge_i32_e64 s[18:19], v2, v9
	v_cmp_eq_u32_e64 s[24:25], v23, v13
	v_cmp_gt_i32_e64 s[20:21], v2, v9
	s_or_b64 s[18:19], s[24:25], s[18:19]
	v_cmp_eq_u32_e32 vcc, 0, v3
	v_mul_lo_u32 v26, v14, v27
	v_mul_lo_u32 v14, v23, v5
	v_cndmask_b32_e64 v23, 0, 1, s[18:19]
	s_or_b64 s[18:19], s[24:25], s[20:21]
	v_add3_u32 v25, v15, v25, v26
	s_and_b64 s[18:19], vcc, s[18:19]
	v_cmp_ne_u32_e64 s[16:17], 0, v3
	v_cmp_ne_u32_e64 s[22:23], 0, v12
	v_ffbl_b32_e32 v2, v12
	v_cndmask_b32_e64 v22, v22, 0, vcc
	v_mov_b32_e32 v15, v14
	ds_write_b64 v0, v[24:25] offset:48
	ds_write2_b64 v0, v[2:3], v[14:15] offset1:1
	ds_write_b32 v0, v23 offset:24
	v_cndmask_b32_e64 v23, 0, 1, s[18:19]
	ds_write_b64 v0, v[22:23] offset:16
	s_and_saveexec_b64 s[18:19], s[22:23]
	s_xor_b64 s[20:21], exec, s[18:19]
	s_cbranch_execz .LBB19_314
; %bb.307:                              ;   in Loop: Header=BB19_289 Depth=2
	v_sub_u32_e32 v3, 0, v4
	v_cmp_eq_u32_e64 s[18:19], v20, v3
	s_and_saveexec_b64 s[22:23], s[18:19]
	s_cbranch_execz .LBB19_313
; %bb.308:                              ;   in Loop: Header=BB19_289 Depth=2
	v_add_u32_e32 v3, 1, v2
	v_ashrrev_i32_e32 v3, v3, v17
	v_sub_u32_e32 v14, 0, v3
	v_max_i32_e32 v14, v3, v14
	v_mul_hi_u32 v15, v14, v21
	v_mul_lo_u32 v17, v15, v19
	v_sub_u32_e32 v14, v14, v17
	v_add_u32_e32 v17, 1, v15
	v_cmp_ge_u32_e64 s[18:19], v14, v19
	v_cndmask_b32_e64 v15, v15, v17, s[18:19]
	v_sub_u32_e32 v17, v14, v19
	v_cndmask_b32_e64 v14, v14, v17, s[18:19]
	v_ashrrev_i32_e32 v4, 31, v3
	v_add_u32_e32 v17, 1, v15
	v_cmp_ge_u32_e64 s[18:19], v14, v19
	v_xor_b32_e32 v4, v4, v18
	v_cndmask_b32_e64 v14, v15, v17, s[18:19]
	v_xor_b32_e32 v14, v14, v4
	v_sub_u32_e32 v4, v14, v4
	v_mul_lo_u32 v10, v4, v10
	v_sub_u32_e32 v10, v3, v10
	v_mul_lo_u32 v5, v10, v5
	ds_write_b32 v0, v5 offset:8
                                        ; implicit-def: $sgpr18
	s_and_saveexec_b64 s[24:25], s[16:17]
	s_xor_b64 s[16:17], exec, s[24:25]
; %bb.309:                              ;   in Loop: Header=BB19_289 Depth=2
	s_mov_b32 s18, 0
                                        ; implicit-def: $vgpr10
                                        ; implicit-def: $vgpr13
                                        ; implicit-def: $vgpr3
                                        ; implicit-def: $vgpr2
; %bb.310:                              ;   in Loop: Header=BB19_289 Depth=2
	s_or_saveexec_b64 s[24:25], s[16:17]
	v_mov_b32_e32 v5, s18
	s_xor_b64 exec, exec, s[24:25]
; %bb.311:                              ;   in Loop: Header=BB19_289 Depth=2
	v_lshlrev_b32_e32 v3, 1, v3
	v_add_lshl_u32 v2, v3, 3, v2
	v_cmp_eq_u32_e64 s[16:17], v10, v13
	v_cmp_ge_i32_e64 s[18:19], v2, v9
	s_or_b64 s[16:17], s[16:17], s[18:19]
	v_cndmask_b32_e64 v5, 0, 1, s[16:17]
	v_mov_b32_e32 v4, 0
; %bb.312:                              ;   in Loop: Header=BB19_289 Depth=2
	s_or_b64 exec, exec, s[24:25]
	ds_write_b64 v0, v[4:5] offset:16
.LBB19_313:                             ;   in Loop: Header=BB19_289 Depth=2
	s_or_b64 exec, exec, s[22:23]
.LBB19_314:                             ;   in Loop: Header=BB19_289 Depth=2
	s_andn2_saveexec_b64 s[16:17], s[20:21]
	s_cbranch_execz .LBB19_316
; %bb.315:                              ;   in Loop: Header=BB19_289 Depth=2
	ds_write2_b32 v0, v48, v16 offset0:2 offset1:5
.LBB19_316:                             ;   in Loop: Header=BB19_289 Depth=2
	s_or_b64 exec, exec, s[16:17]
	v_cmp_ge_i32_e64 s[18:19], v11, v9
	v_cmp_lt_i32_e64 s[16:17], v12, v9
	s_and_b64 s[16:17], s[18:19], s[16:17]
	s_and_b64 s[20:21], vcc, s[16:17]
	s_and_saveexec_b64 s[16:17], s[20:21]
	s_cbranch_execz .LBB19_318
; %bb.317:                              ;   in Loop: Header=BB19_289 Depth=2
	s_andn2_b64 s[18:19], s[18:19], exec
	ds_write2_b32 v0, v48, v48 offset0:1 offset1:3
	ds_write_b32 v0, v16 offset:24
.LBB19_318:                             ;   in Loop: Header=BB19_289 Depth=2
	s_or_b64 exec, exec, s[16:17]
	s_andn2_b64 s[16:17], s[40:41], exec
	s_and_b64 s[18:19], s[18:19], exec
	s_or_b64 s[40:41], s[16:17], s[18:19]
.LBB19_319:                             ;   in Loop: Header=BB19_289 Depth=2
	s_or_b64 exec, exec, s[42:43]
	s_and_b64 s[16:17], s[40:41], exec
                                        ; implicit-def: $vgpr5
.LBB19_320:                             ;   in Loop: Header=BB19_289 Depth=2
	s_andn2_saveexec_b64 s[18:19], s[38:39]
	s_cbranch_execz .LBB19_326
; %bb.321:                              ;   in Loop: Header=BB19_289 Depth=2
	v_cmp_eq_u32_e32 vcc, 0, v6
	s_mov_b64 s[22:23], 0
	s_and_saveexec_b64 s[20:21], vcc
	s_cbranch_execz .LBB19_325
; %bb.322:                              ;   in Loop: Header=BB19_289 Depth=2
	buffer_load_dword v2, off, s[0:3], s32 offset:116
	buffer_load_dword v9, off, s[0:3], s32 offset:124
	;; [unrolled: 1-line block ×7, first 2 shown]
	v_sub_u32_e32 v3, 0, v7
	v_max_i32_e32 v15, v7, v3
	v_ashrrev_i32_e32 v14, 31, v7
	v_mov_b32_e32 v17, v48
	ds_write2_b32 v0, v48, v16 offset0:3 offset1:4
	ds_write_b64 v0, v[16:17]
	v_mov_b32_e32 v17, v16
	s_waitcnt vmcnt(5)
	v_mad_u64_u32 v[2:3], s[22:23], v9, v7, v[2:3]
	s_waitcnt vmcnt(4)
	v_sub_u32_e32 v3, 0, v4
	s_waitcnt vmcnt(3)
	v_sub_u32_e32 v18, 0, v10
	v_max_i32_e32 v3, v4, v3
	v_add_u32_e32 v19, -1, v10
	v_max_i32_e32 v10, v10, v18
	v_cvt_f32_u32_e32 v18, v3
	v_cvt_f32_u32_e32 v20, v10
	s_waitcnt vmcnt(2)
	v_add_u32_e32 v11, v11, v2
	v_sub_u32_e32 v22, 0, v11
	v_rcp_iflag_f32_e32 v18, v18
	v_rcp_iflag_f32_e32 v20, v20
	v_sub_u32_e32 v23, 0, v3
	v_ashrrev_i32_e32 v21, 31, v11
	v_mul_f32_e32 v18, 0x4f7ffffe, v18
	v_mul_f32_e32 v20, 0x4f7ffffe, v20
	v_cvt_u32_f32_e32 v18, v18
	v_cvt_u32_f32_e32 v20, v20
	v_sub_u32_e32 v24, 0, v10
	v_max_i32_e32 v11, v11, v22
	v_mul_lo_u32 v22, v23, v18
	v_mul_lo_u32 v23, v24, v20
	v_mul_hi_u32 v22, v18, v22
	v_mul_hi_u32 v23, v20, v23
	v_add_u32_e32 v18, v18, v22
	v_add_u32_e32 v20, v20, v23
	v_mul_hi_u32 v18, v11, v18
	v_mul_hi_u32 v20, v15, v20
	v_mul_lo_u32 v18, v18, v3
	v_mul_lo_u32 v20, v20, v10
	v_sub_u32_e32 v11, v11, v18
	v_sub_u32_e32 v15, v15, v20
	;; [unrolled: 1-line block ×3, first 2 shown]
	v_cmp_ge_u32_e32 vcc, v11, v3
	v_sub_u32_e32 v20, v15, v10
	v_cndmask_b32_e32 v11, v11, v18, vcc
	v_cmp_ge_u32_e32 vcc, v15, v10
	v_cndmask_b32_e32 v15, v15, v20, vcc
	v_sub_u32_e32 v18, v11, v3
	v_cmp_ge_u32_e32 vcc, v11, v3
	v_sub_u32_e32 v20, v15, v10
	v_cndmask_b32_e32 v3, v11, v18, vcc
	v_cmp_ge_u32_e32 vcc, v15, v10
	v_cndmask_b32_e32 v10, v15, v20, vcc
	v_xor_b32_e32 v3, v3, v21
	v_xor_b32_e32 v10, v10, v14
	v_sub_u32_e32 v3, v3, v21
	v_sub_u32_e32 v14, v10, v14
	v_ashrrev_i32_e32 v15, 31, v3
	s_waitcnt vmcnt(1)
	v_mul_lo_u32 v12, v12, v3
	s_waitcnt vmcnt(0)
	v_mad_u64_u32 v[10:11], s[22:23], v13, v3, v[0:1]
	v_mul_lo_u32 v3, v14, v5
	v_mul_lo_u32 v5, v13, v15
	v_cmp_ne_u32_e32 vcc, v14, v19
	ds_write_b32 v0, v3 offset:8
	v_add3_u32 v11, v12, v11, v5
	v_mov_b32_e32 v3, 1
	ds_write2_b64 v0, v[16:17], v[10:11] offset0:5 offset1:6
	s_and_saveexec_b64 s[22:23], vcc
; %bb.323:                              ;   in Loop: Header=BB19_289 Depth=2
	v_add_u32_e32 v3, v2, v9
	v_cmp_ge_i32_e32 vcc, v3, v4
	v_cndmask_b32_e64 v3, 0, 1, vcc
; %bb.324:                              ;   in Loop: Header=BB19_289 Depth=2
	s_or_b64 exec, exec, s[22:23]
	v_cmp_ge_i32_e32 vcc, v2, v4
	s_and_b64 s[22:23], vcc, exec
	ds_write2_b32 v0, v3, v16 offset0:5 offset1:6
.LBB19_325:                             ;   in Loop: Header=BB19_289 Depth=2
	s_or_b64 exec, exec, s[20:21]
	s_andn2_b64 s[16:17], s[16:17], exec
	s_and_b64 s[20:21], s[22:23], exec
	s_or_b64 s[16:17], s[16:17], s[20:21]
.LBB19_326:                             ;   in Loop: Header=BB19_289 Depth=2
	s_or_b64 exec, exec, s[18:19]
	s_orn2_b64 s[18:19], s[16:17], exec
.LBB19_327:                             ;   in Loop: Header=BB19_289 Depth=2
	s_or_b64 exec, exec, s[28:29]
	buffer_load_dword v2, off, s[0:3], s32 offset:108
	v_add_u32_e32 v3, 1, v7
	buffer_store_dword v3, off, s[0:3], s32 offset:120
                                        ; implicit-def: $sgpr22_sgpr23
	s_waitcnt vmcnt(1)
	v_max_i32_e32 v4, v8, v2
	v_cmp_le_i32_e32 vcc, v4, v3
	s_and_saveexec_b64 s[16:17], vcc
	s_xor_b64 s[20:21], exec, s[16:17]
	s_cbranch_execz .LBB19_384
; %bb.328:                              ;   in Loop: Header=BB19_289 Depth=2
	v_cmp_lt_i32_e32 vcc, 1, v6
                                        ; implicit-def: $vgpr2
	s_and_saveexec_b64 s[16:17], vcc
	s_xor_b64 s[16:17], exec, s[16:17]
	s_cbranch_execz .LBB19_332
; %bb.329:                              ;   in Loop: Header=BB19_289 Depth=2
	v_cmp_eq_u32_e32 vcc, 2, v6
	v_mov_b32_e32 v2, 1
	s_and_saveexec_b64 s[22:23], vcc
	s_cbranch_execz .LBB19_331
; %bb.330:                              ;   in Loop: Header=BB19_289 Depth=2
	buffer_load_dword v2, off, s[0:3], s32 offset:128
	s_waitcnt vmcnt(0)
	v_lshrrev_b32_e32 v3, 31, v2
	v_add_u32_e32 v4, 1, v2
	v_add_u32_e32 v2, v2, v3
	v_ashrrev_i32_e32 v2, 1, v2
	v_cmp_gt_u32_e32 vcc, 3, v4
	buffer_store_dword v2, off, s[0:3], s32 offset:128
	v_cndmask_b32_e64 v2, 2, 1, vcc
.LBB19_331:                             ;   in Loop: Header=BB19_289 Depth=2
	s_or_b64 exec, exec, s[22:23]
.LBB19_332:                             ;   in Loop: Header=BB19_289 Depth=2
	s_andn2_saveexec_b64 s[16:17], s[16:17]
	s_cbranch_execz .LBB19_336
; %bb.333:                              ;   in Loop: Header=BB19_289 Depth=2
	v_cmp_eq_u32_e32 vcc, 1, v6
	v_mov_b32_e32 v2, 1
	s_and_saveexec_b64 s[22:23], vcc
	s_cbranch_execz .LBB19_335
; %bb.334:                              ;   in Loop: Header=BB19_289 Depth=2
	buffer_load_dword v2, off, s[0:3], s32 offset:116
	s_waitcnt vmcnt(0)
	v_and_b32_e32 v2, 0x80000001, v2
	v_cmp_ne_u32_e32 vcc, 1, v2
	v_cndmask_b32_e64 v2, 0, 1, vcc
.LBB19_335:                             ;   in Loop: Header=BB19_289 Depth=2
	s_or_b64 exec, exec, s[22:23]
.LBB19_336:                             ;   in Loop: Header=BB19_289 Depth=2
	s_or_b64 exec, exec, s[16:17]
	v_cmp_eq_u32_e32 vcc, 0, v6
	v_cmp_ne_u32_e64 s[24:25], 0, v6
	s_mov_b64 s[16:17], -1
	buffer_store_dword v2, off, s[0:3], s32 offset:132
	s_and_saveexec_b64 s[22:23], s[24:25]
	s_cbranch_execz .LBB19_346
; %bb.337:                              ;   in Loop: Header=BB19_289 Depth=2
	v_cmp_eq_u32_e64 s[16:17], 1, v6
	s_mov_b64 s[38:39], 0
	s_and_saveexec_b64 s[28:29], s[16:17]
	s_cbranch_execz .LBB19_339
; %bb.338:                              ;   in Loop: Header=BB19_289 Depth=2
	buffer_load_dword v3, off, s[0:3], s32 offset:116
	s_waitcnt vmcnt(0)
	v_and_b32_e32 v3, 1, v3
	v_cmp_eq_u32_e64 s[16:17], 0, v3
	s_and_b64 s[38:39], s[16:17], exec
.LBB19_339:                             ;   in Loop: Header=BB19_289 Depth=2
	s_or_b64 exec, exec, s[28:29]
	s_orn2_b64 s[16:17], s[38:39], exec
	s_or_b64 exec, exec, s[22:23]
	s_and_saveexec_b64 s[22:23], s[16:17]
	s_cbranch_execnz .LBB19_347
.LBB19_340:                             ;   in Loop: Header=BB19_289 Depth=2
	s_or_b64 exec, exec, s[22:23]
	s_mov_b64 s[16:17], 0
	s_and_saveexec_b64 s[22:23], vcc
	s_cbranch_execz .LBB19_342
.LBB19_341:                             ;   in Loop: Header=BB19_289 Depth=2
	buffer_load_dword v3, off, s[0:3], s32 offset:124
	buffer_load_dword v4, off, s[0:3], s32 offset:116
	s_andn2_b64 s[24:25], s[24:25], exec
	s_mov_b64 s[16:17], exec
	s_waitcnt vmcnt(1)
	v_lshrrev_b32_e32 v5, 31, v3
	v_add_u32_e32 v3, v3, v5
	v_ashrrev_i32_e32 v3, 1, v3
	s_waitcnt vmcnt(0)
	v_cmp_ne_u32_e32 vcc, v4, v3
	s_and_b64 s[28:29], vcc, exec
	s_or_b64 s[24:25], s[24:25], s[28:29]
.LBB19_342:                             ;   in Loop: Header=BB19_289 Depth=2
	s_or_b64 exec, exec, s[22:23]
                                        ; implicit-def: $sgpr22_sgpr23
	s_and_saveexec_b64 s[28:29], s[24:25]
	s_xor_b64 s[24:25], exec, s[28:29]
	s_cbranch_execz .LBB19_356
; %bb.343:                              ;   in Loop: Header=BB19_289 Depth=2
	buffer_load_dword v3, off, s[0:3], s32 offset:112
	v_cmp_lt_u32_e32 vcc, 1, v2
	buffer_store_dword v16, off, s[0:3], s32 offset:120
	s_waitcnt vmcnt(1)
	buffer_store_dword v3, off, s[0:3], s32 offset:104
	s_and_saveexec_b64 s[22:23], vcc
	s_cbranch_execz .LBB19_345
; %bb.344:                              ;   in Loop: Header=BB19_289 Depth=2
	buffer_load_dword v2, off, s[0:3], s32 offset:128
	v_sub_u32_e32 v6, 0, v3
	v_max_i32_e32 v6, v3, v6
	s_waitcnt vmcnt(0)
	v_lshlrev_b32_e32 v2, 1, v2
	v_sub_u32_e32 v4, 0, v2
	v_max_i32_e32 v4, v2, v4
	v_cvt_f32_u32_e32 v5, v4
	v_xor_b32_e32 v2, v3, v2
	v_sub_u32_e32 v3, 0, v4
	v_ashrrev_i32_e32 v2, 31, v2
	v_rcp_iflag_f32_e32 v5, v5
	v_mul_f32_e32 v5, 0x4f7ffffe, v5
	v_cvt_u32_f32_e32 v5, v5
	v_mul_lo_u32 v3, v3, v5
	v_mul_hi_u32 v3, v5, v3
	v_add_u32_e32 v3, v5, v3
	v_mul_hi_u32 v3, v6, v3
	v_mul_lo_u32 v5, v3, v4
	v_sub_u32_e32 v5, v6, v5
	v_add_u32_e32 v7, 1, v3
	v_cmp_ge_u32_e32 vcc, v5, v4
	v_sub_u32_e32 v6, v5, v4
	v_cndmask_b32_e32 v3, v3, v7, vcc
	v_cndmask_b32_e32 v5, v5, v6, vcc
	v_add_u32_e32 v6, 1, v3
	v_cmp_ge_u32_e32 vcc, v5, v4
	v_cndmask_b32_e32 v3, v3, v6, vcc
	v_xor_b32_e32 v3, v3, v2
	v_sub_u32_e32 v2, v3, v2
	buffer_store_dword v2, off, s[0:3], s32 offset:104
.LBB19_345:                             ;   in Loop: Header=BB19_289 Depth=2
	s_or_b64 exec, exec, s[22:23]
	s_mov_b64 s[22:23], 0
	s_andn2_b64 s[16:17], s[16:17], exec
	s_or_b64 exec, exec, s[24:25]
	s_and_saveexec_b64 s[24:25], s[16:17]
	s_cbranch_execz .LBB19_383
	s_branch .LBB19_357
.LBB19_346:                             ;   in Loop: Header=BB19_289 Depth=2
	s_or_b64 exec, exec, s[22:23]
	s_and_saveexec_b64 s[22:23], s[16:17]
	s_cbranch_execz .LBB19_340
.LBB19_347:                             ;   in Loop: Header=BB19_289 Depth=2
	buffer_load_dword v3, off, s[0:3], s32 offset:136
	buffer_load_dword v4, off, s[0:3], s32 offset:140
	s_waitcnt vmcnt(1)
	v_cmp_lt_i32_e64 s[16:17], 0, v3
	s_and_saveexec_b64 s[28:29], s[16:17]
	s_cbranch_execz .LBB19_377
; %bb.348:                              ;   in Loop: Header=BB19_289 Depth=2
	s_mov_b32 s46, 0
	s_mov_b64 s[38:39], 0
	v_mov_b32_e32 v5, v31
	s_branch .LBB19_352
.LBB19_349:                             ;   in Loop: Header=BB19_352 Depth=3
	s_or_b64 exec, exec, s[44:45]
	v_add_u32_e32 v4, 1, v7
	buffer_store_dword v4, v5, s[0:3], 0 offen offset:128
.LBB19_350:                             ;   in Loop: Header=BB19_352 Depth=3
	s_or_b64 exec, exec, s[42:43]
	v_mov_b32_e32 v4, v6
.LBB19_351:                             ;   in Loop: Header=BB19_352 Depth=3
	s_or_b64 exec, exec, s[40:41]
	s_add_i32 s46, s46, 1
	v_cmp_eq_u32_e64 s[16:17], s46, v3
	s_or_b64 s[38:39], s[16:17], s[38:39]
	v_add_u32_e32 v5, 4, v5
	s_andn2_b64 exec, exec, s[38:39]
	s_cbranch_execz .LBB19_376
.LBB19_352:                             ;   Parent Loop BB19_4 Depth=1
                                        ;     Parent Loop BB19_289 Depth=2
                                        ; =>    This Inner Loop Header: Depth=3
	buffer_load_dword v6, v5, s[0:3], 0 offen
	s_waitcnt vmcnt(0)
	v_add_u32_e32 v6, -1, v6
	v_cmp_eq_u32_e64 s[16:17], 0, v6
	buffer_store_dword v6, v5, s[0:3], 0 offen
	s_and_saveexec_b64 s[40:41], s[16:17]
	s_cbranch_execz .LBB19_351
; %bb.353:                              ;   in Loop: Header=BB19_352 Depth=3
	s_lshl_b32 s47, 1, s46
	v_xor_b32_e32 v6, s47, v4
	v_mov_b32_e32 v7, s47
	buffer_store_dword v6, off, s[0:3], s32 offset:140
	buffer_store_dword v7, v5, s[0:3], 0 offen
	v_and_b32_e32 v7, s47, v4
	v_cmp_ne_u32_e64 s[16:17], 0, v7
	s_and_saveexec_b64 s[42:43], s[16:17]
	s_cbranch_execz .LBB19_350
; %bb.354:                              ;   in Loop: Header=BB19_352 Depth=3
	buffer_load_dword v7, v5, s[0:3], 0 offen offset:128
	s_waitcnt vmcnt(0)
	v_ffbl_b32_e32 v8, v7
	v_cmp_eq_u32_e64 s[16:17], 0, v7
	v_cndmask_b32_e64 v8, v8, v3, s[16:17]
	v_add3_u32 v8, s47, -1, v8
	v_cmp_eq_u32_e64 s[16:17], 0, v8
	buffer_store_dword v8, v5, s[0:3], 0 offen
	s_and_saveexec_b64 s[44:45], s[16:17]
	s_cbranch_execz .LBB19_349
; %bb.355:                              ;   in Loop: Header=BB19_352 Depth=3
	v_mov_b32_e32 v6, s47
	buffer_store_dword v4, off, s[0:3], s32 offset:140
	buffer_store_dword v6, v5, s[0:3], 0 offen
	v_mov_b32_e32 v6, v4
	s_branch .LBB19_349
.LBB19_356:                             ;   in Loop: Header=BB19_289 Depth=2
	s_or_b64 exec, exec, s[24:25]
	s_and_saveexec_b64 s[24:25], s[16:17]
	s_cbranch_execz .LBB19_383
.LBB19_357:                             ;   in Loop: Header=BB19_289 Depth=2
	buffer_load_dword v2, off, s[0:3], s32 offset:80
	buffer_load_dword v4, off, s[0:3], s32 offset:64
	;; [unrolled: 1-line block ×3, first 2 shown]
                                        ; implicit-def: $sgpr28_sgpr29
	s_waitcnt vmcnt(2)
	v_ashrrev_i32_e32 v3, 31, v2
	v_add_co_u32_e32 v6, vcc, v0, v2
	v_addc_co_u32_e32 v7, vcc, v1, v3, vcc
	s_waitcnt vmcnt(0)
	v_cmp_le_u64_e32 vcc, v[4:5], v[6:7]
	buffer_store_dword v6, off, s[0:3], s32 offset:56
	buffer_store_dword v7, off, s[0:3], s32 offset:60
	s_and_saveexec_b64 s[16:17], vcc
	s_xor_b64 s[16:17], exec, s[16:17]
	s_cbranch_execz .LBB19_359
; %bb.358:                              ;   in Loop: Header=BB19_289 Depth=2
	s_mov_b64 s[28:29], -1
	ds_write_b32 v0, v35 offset:32
                                        ; implicit-def: $vgpr4_vgpr5
                                        ; implicit-def: $vgpr6
                                        ; implicit-def: $vgpr2_vgpr3
.LBB19_359:                             ;   in Loop: Header=BB19_289 Depth=2
	s_andn2_saveexec_b64 s[38:39], s[16:17]
	s_cbranch_execz .LBB19_382
; %bb.360:                              ;   in Loop: Header=BB19_289 Depth=2
	buffer_load_dword v8, off, s[0:3], s32 offset:112
	buffer_load_dword v0, off, s[0:3], s32 offset:136
	v_sub_co_u32_e32 v4, vcc, v4, v6
	v_subb_co_u32_e32 v5, vcc, v5, v7, vcc
	v_cmp_lt_i64_e32 vcc, v[2:3], v[4:5]
	v_cndmask_b32_e32 v1, v4, v2, vcc
	buffer_store_dword v1, off, s[0:3], s32 offset:84
	buffer_store_dword v16, off, s[0:3], s32 offset:140
	s_waitcnt vmcnt(3)
	v_lshrrev_b32_e32 v1, 31, v8
	v_add_u32_e32 v2, -2, v8
	v_add_u32_e32 v1, v8, v1
	v_cmp_gt_u32_e32 vcc, -3, v2
	s_waitcnt vmcnt(2)
	v_cmp_lt_i32_e64 s[16:17], 0, v0
	v_cndmask_b32_e64 v3, 1, 2, vcc
	v_ashrrev_i32_e32 v2, 1, v1
	v_mov_b32_e32 v1, 0
	buffer_store_dword v3, off, s[0:3], s32 offset:132
	buffer_store_dword v2, off, s[0:3], s32 offset:128
	s_and_saveexec_b64 s[40:41], s[16:17]
	s_cbranch_execz .LBB19_379
; %bb.361:                              ;   in Loop: Header=BB19_289 Depth=2
	v_cmp_ne_u32_e64 s[16:17], 1, v0
	s_mov_b64 s[44:45], -1
	v_mov_b32_e32 v3, 0
	s_and_saveexec_b64 s[42:43], s[16:17]
	s_cbranch_execz .LBB19_365
; %bb.362:                              ;   in Loop: Header=BB19_289 Depth=2
	v_and_b32_e32 v3, 0x7ffffffe, v0
	v_mov_b32_e32 v1, v0
	s_mov_b32 s46, 1
	s_mov_b32 s47, 0
	s_mov_b64 s[44:45], 0
	v_mov_b32_e32 v4, v3
	v_mov_b32_e32 v5, v31
.LBB19_363:                             ;   Parent Loop BB19_4 Depth=1
                                        ;     Parent Loop BB19_289 Depth=2
                                        ; =>    This Inner Loop Header: Depth=3
	v_add_u32_e32 v4, -2, v4
	v_subrev_u32_e32 v6, s47, v0
	v_subrev_u32_e32 v7, s46, v1
	s_add_i32 s47, s47, 2
	s_add_i32 s46, s46, 2
	v_cmp_eq_u32_e64 s[16:17], 0, v4
	buffer_store_dword v34, v5, s[0:3], 0 offen offset:132
	buffer_store_dword v34, v5, s[0:3], 0 offen offset:128
	buffer_store_dword v7, v5, s[0:3], 0 offen offset:4
	buffer_store_dword v6, v5, s[0:3], 0 offen
	s_or_b64 s[44:45], s[16:17], s[44:45]
	v_add_u32_e32 v5, 8, v5
	s_andn2_b64 exec, exec, s[44:45]
	s_cbranch_execnz .LBB19_363
; %bb.364:                              ;   in Loop: Header=BB19_289 Depth=2
	s_or_b64 exec, exec, s[44:45]
	v_cmp_ne_u32_e64 s[16:17], v0, v3
	s_orn2_b64 s[44:45], s[16:17], exec
.LBB19_365:                             ;   in Loop: Header=BB19_289 Depth=2
	s_or_b64 exec, exec, s[42:43]
	s_and_saveexec_b64 s[42:43], s[44:45]
	s_cbranch_execz .LBB19_368
; %bb.366:                              ;   in Loop: Header=BB19_289 Depth=2
	v_lshl_add_u32 v1, v3, 2, v31
	v_sub_u32_e32 v3, v0, v3
	s_mov_b64 s[44:45], 0
.LBB19_367:                             ;   Parent Loop BB19_4 Depth=1
                                        ;     Parent Loop BB19_289 Depth=2
                                        ; =>    This Inner Loop Header: Depth=3
	buffer_store_dword v3, v1, s[0:3], 0 offen
	buffer_store_dword v34, v1, s[0:3], 0 offen offset:128
	v_add_u32_e32 v3, -1, v3
	v_cmp_eq_u32_e64 s[16:17], 0, v3
	s_or_b64 s[44:45], s[16:17], s[44:45]
	v_add_u32_e32 v1, 4, v1
	s_andn2_b64 exec, exec, s[44:45]
	s_cbranch_execnz .LBB19_367
.LBB19_368:                             ;   in Loop: Header=BB19_289 Depth=2
	s_or_b64 exec, exec, s[42:43]
	s_mov_b32 s51, 0
	s_mov_b64 s[42:43], 0
	v_mov_b32_e32 v1, 0
	v_mov_b32_e32 v3, v31
	s_branch .LBB19_372
.LBB19_369:                             ;   in Loop: Header=BB19_372 Depth=3
	s_or_b64 exec, exec, s[48:49]
	v_add_u32_e32 v1, 1, v5
	buffer_store_dword v1, v3, s[0:3], 0 offen offset:128
.LBB19_370:                             ;   in Loop: Header=BB19_372 Depth=3
	s_or_b64 exec, exec, s[46:47]
	v_mov_b32_e32 v1, v4
.LBB19_371:                             ;   in Loop: Header=BB19_372 Depth=3
	s_or_b64 exec, exec, s[44:45]
	s_add_i32 s51, s51, 1
	v_cmp_eq_u32_e64 s[16:17], s51, v0
	s_or_b64 s[42:43], s[16:17], s[42:43]
	v_add_u32_e32 v3, 4, v3
	s_andn2_b64 exec, exec, s[42:43]
	s_cbranch_execz .LBB19_378
.LBB19_372:                             ;   Parent Loop BB19_4 Depth=1
                                        ;     Parent Loop BB19_289 Depth=2
                                        ; =>    This Inner Loop Header: Depth=3
	buffer_load_dword v4, v3, s[0:3], 0 offen
	s_waitcnt vmcnt(0)
	v_add_u32_e32 v4, -1, v4
	v_cmp_eq_u32_e64 s[16:17], 0, v4
	buffer_store_dword v4, v3, s[0:3], 0 offen
	s_and_saveexec_b64 s[44:45], s[16:17]
	s_cbranch_execz .LBB19_371
; %bb.373:                              ;   in Loop: Header=BB19_372 Depth=3
	s_lshl_b32 s52, 1, s51
	v_xor_b32_e32 v4, s52, v1
	v_mov_b32_e32 v5, s52
	buffer_store_dword v4, off, s[0:3], s32 offset:140
	buffer_store_dword v5, v3, s[0:3], 0 offen
	v_and_b32_e32 v5, s52, v1
	v_cmp_ne_u32_e64 s[16:17], 0, v5
	s_and_saveexec_b64 s[46:47], s[16:17]
	s_cbranch_execz .LBB19_370
; %bb.374:                              ;   in Loop: Header=BB19_372 Depth=3
	buffer_load_dword v5, v3, s[0:3], 0 offen offset:128
	s_waitcnt vmcnt(0)
	v_ffbl_b32_e32 v6, v5
	v_cmp_eq_u32_e64 s[16:17], 0, v5
	v_cndmask_b32_e64 v6, v6, v0, s[16:17]
	v_add3_u32 v6, s52, -1, v6
	v_cmp_eq_u32_e64 s[16:17], 0, v6
	buffer_store_dword v6, v3, s[0:3], 0 offen
	s_and_saveexec_b64 s[48:49], s[16:17]
	s_cbranch_execz .LBB19_369
; %bb.375:                              ;   in Loop: Header=BB19_372 Depth=3
	v_mov_b32_e32 v4, s52
	buffer_store_dword v1, off, s[0:3], s32 offset:140
	buffer_store_dword v4, v3, s[0:3], 0 offen
	v_mov_b32_e32 v4, v1
	s_branch .LBB19_369
.LBB19_376:                             ;   in Loop: Header=BB19_289 Depth=2
	s_or_b64 exec, exec, s[38:39]
.LBB19_377:                             ;   in Loop: Header=BB19_289 Depth=2
	s_or_b64 exec, exec, s[28:29]
	s_waitcnt vmcnt(0)
	buffer_store_dword v4, off, s[0:3], s32 offset:116
	s_or_b64 exec, exec, s[22:23]
	s_mov_b64 s[16:17], 0
	s_and_saveexec_b64 s[22:23], vcc
	s_cbranch_execz .LBB19_342
	s_branch .LBB19_341
.LBB19_378:                             ;   in Loop: Header=BB19_289 Depth=2
	s_or_b64 exec, exec, s[42:43]
.LBB19_379:                             ;   in Loop: Header=BB19_289 Depth=2
	s_or_b64 exec, exec, s[40:41]
	buffer_store_dword v1, off, s[0:3], s32 offset:116
	buffer_store_dword v16, off, s[0:3], s32 offset:120
	s_and_saveexec_b64 s[16:17], vcc
	s_cbranch_execz .LBB19_381
; %bb.380:                              ;   in Loop: Header=BB19_289 Depth=2
	v_ashrrev_i32_e32 v0, 31, v2
	v_lshl_add_u32 v1, v2, 1, v0
	v_xor_b32_e32 v1, v1, v0
	v_cvt_f32_u32_e32 v2, v1
	v_ashrrev_i32_e32 v3, 31, v8
	v_sub_u32_e32 v4, 0, v8
	v_xor_b32_e32 v0, v3, v0
	v_rcp_iflag_f32_e32 v2, v2
	v_max_i32_e32 v3, v8, v4
	v_sub_u32_e32 v4, 0, v1
	v_mul_f32_e32 v2, 0x4f7ffffe, v2
	v_cvt_u32_f32_e32 v2, v2
	v_mul_lo_u32 v4, v4, v2
	v_mul_hi_u32 v4, v2, v4
	v_add_u32_e32 v2, v2, v4
	v_mul_hi_u32 v2, v3, v2
	v_mul_lo_u32 v4, v2, v1
	v_sub_u32_e32 v3, v3, v4
	v_add_u32_e32 v5, 1, v2
	v_cmp_ge_u32_e32 vcc, v3, v1
	v_sub_u32_e32 v4, v3, v1
	v_cndmask_b32_e32 v2, v2, v5, vcc
	v_cndmask_b32_e32 v3, v3, v4, vcc
	v_add_u32_e32 v4, 1, v2
	v_cmp_ge_u32_e32 vcc, v3, v1
	v_cndmask_b32_e32 v1, v2, v4, vcc
	v_xor_b32_e32 v1, v1, v0
	v_sub_u32_e32 v8, v1, v0
.LBB19_381:                             ;   in Loop: Header=BB19_289 Depth=2
	s_or_b64 exec, exec, s[16:17]
	s_andn2_b64 s[28:29], s[28:29], exec
	buffer_store_dword v8, off, s[0:3], s32 offset:104
.LBB19_382:                             ;   in Loop: Header=BB19_289 Depth=2
	s_or_b64 exec, exec, s[38:39]
	s_andn2_b64 s[16:17], s[22:23], exec
	s_and_b64 s[22:23], s[28:29], exec
	s_or_b64 s[22:23], s[16:17], s[22:23]
.LBB19_383:                             ;   in Loop: Header=BB19_289 Depth=2
	s_or_b64 exec, exec, s[24:25]
	s_and_b64 s[22:23], s[22:23], exec
                                        ; implicit-def: $vgpr6
                                        ; implicit-def: $vgpr0_vgpr1
                                        ; implicit-def: $vgpr8
                                        ; implicit-def: $vgpr2
                                        ; implicit-def: $vgpr7
.LBB19_384:                             ;   in Loop: Header=BB19_289 Depth=2
	s_andn2_saveexec_b64 s[20:21], s[20:21]
	s_cbranch_execz .LBB19_288
; %bb.385:                              ;   in Loop: Header=BB19_289 Depth=2
	buffer_load_dword v3, off, s[0:3], s32 offset:116
	v_cmp_eq_u32_e32 vcc, 0, v6
	s_waitcnt vmcnt(0)
	v_cmp_eq_u32_e64 s[16:17], 1, v3
	s_and_b64 s[24:25], vcc, s[16:17]
	s_and_saveexec_b64 s[16:17], s[24:25]
	s_cbranch_execz .LBB19_287
; %bb.386:                              ;   in Loop: Header=BB19_289 Depth=2
	buffer_load_dword v3, off, s[0:3], s32 offset:80
	buffer_load_dword v4, off, s[0:3], s32 offset:64
	;; [unrolled: 1-line block ×3, first 2 shown]
	s_waitcnt vmcnt(2)
	v_ashrrev_i32_e32 v6, 31, v3
	v_add_co_u32_e32 v0, vcc, v0, v3
	v_addc_co_u32_e32 v1, vcc, v1, v6, vcc
	s_waitcnt vmcnt(0)
	v_cmp_ge_u64_e32 vcc, v[0:1], v[4:5]
	s_and_b64 exec, exec, vcc
	s_cbranch_execz .LBB19_287
; %bb.387:                              ;   in Loop: Header=BB19_289 Depth=2
	v_sub_u32_e32 v0, 0, v2
	v_max_i32_e32 v0, v2, v0
	v_cvt_f32_u32_e32 v1, v0
	v_sub_u32_e32 v5, 0, v0
	v_add_u32_e32 v2, -1, v8
	v_sub_u32_e32 v3, 1, v8
	v_rcp_iflag_f32_e32 v1, v1
	v_max_i32_e32 v3, v2, v3
	v_ashrrev_i32_e32 v4, 31, v2
	v_mul_f32_e32 v1, 0x4f7ffffe, v1
	v_cvt_u32_f32_e32 v1, v1
	v_mul_lo_u32 v5, v5, v1
	v_mul_hi_u32 v5, v1, v5
	v_add_u32_e32 v1, v1, v5
	v_mul_hi_u32 v1, v3, v1
	v_mul_lo_u32 v1, v1, v0
	v_sub_u32_e32 v1, v3, v1
	v_sub_u32_e32 v3, v1, v0
	v_cmp_ge_u32_e32 vcc, v1, v0
	v_cndmask_b32_e32 v1, v1, v3, vcc
	v_sub_u32_e32 v3, v1, v0
	v_cmp_ge_u32_e32 vcc, v1, v0
	v_cndmask_b32_e32 v0, v1, v3, vcc
	v_xor_b32_e32 v0, v0, v4
	v_sub_u32_e32 v0, v4, v0
	v_add_u32_e32 v0, v2, v0
	v_cmp_ge_i32_e32 vcc, v7, v0
	s_and_b64 exec, exec, vcc
	s_cbranch_execz .LBB19_287
; %bb.388:                              ;   in Loop: Header=BB19_289 Depth=2
	ds_write_b32 v0, v34 offset:32
	s_branch .LBB19_287
.LBB19_389:
	buffer_load_dword v62, off, s[0:3], s32 ; 4-byte Folded Reload
	buffer_load_dword v61, off, s[0:3], s32 offset:4 ; 4-byte Folded Reload
	buffer_load_dword v60, off, s[0:3], s32 offset:8 ; 4-byte Folded Reload
	;; [unrolled: 1-line block ×13, first 2 shown]
	v_readlane_b32 s30, v63, 39
	v_readlane_b32 s31, v63, 40
	;; [unrolled: 1-line block ×41, first 2 shown]
	v_accvgpr_read_b32 v40, a31             ;  Reload Reuse
	s_or_saveexec_b64 s[4:5], -1
	buffer_load_dword v63, off, s[0:3], s32 offset:400 ; 4-byte Folded Reload
	s_mov_b64 exec, s[4:5]
	s_waitcnt vmcnt(0)
	s_setpc_b64 s[30:31]
.Lfunc_end19:
	.size	_Z45ncclDevFunc_AllGather_PAT_SIMPLE_Sum_i8_0_0_4v, .Lfunc_end19-_Z45ncclDevFunc_AllGather_PAT_SIMPLE_Sum_i8_0_0_4v
                                        ; -- End function
	.section	.AMDGPU.csdata,"",@progbits
; Function info:
; codeLenInByte = 16704
; NumSgprs: 77
; NumVgprs: 64
; NumAgprs: 32
; TotalNumVgprs: 96
; ScratchSize: 408
; MemoryBound: 0
	.text
	.p2alignl 6, 3212836864
	.fill 256, 4, 3212836864
	.type	__const.__assert_fail.fmt,@object ; @__const.__assert_fail.fmt
	.section	.rodata.str1.16,"aMS",@progbits,1
	.p2align	4, 0x0
__const.__assert_fail.fmt:
	.asciz	"%s:%u: %s: Device-side assertion `%s' failed.\n"
	.size	__const.__assert_fail.fmt, 47

	.type	.str.2,@object                  ; @.str.2
	.section	.rodata.str1.1,"aMS",@progbits,1
.str.2:
	.asciz	"2*(nrecv+nsend) <= nthreads"
	.size	.str.2, 28

	.type	.str.3,@object                  ; @.str.3
.str.3:
	.asciz	"/root/src/amdgpu-assembly/repos/ROCm__rccl/hipify/src/device/prims_simple.h"
	.size	.str.3, 76

	.type	__const.Primitives.roles,@object ; @__const.Primitives.roles
	.section	.rodata,"a",@progbits
	.p2align	4, 0x0
__const.Primitives.roles:
	.long	4                               ; 0x4
	.long	32                              ; 0x20
	.long	8                               ; 0x8
	.long	16                              ; 0x10
	.long	3                               ; 0x3
	.size	__const.Primitives.roles, 20

	.type	__PRETTY_FUNCTION__._ZN10PrimitivesIa7FuncSumIaE12FanSymmetricILi1EELi0E11ProtoSimpleILi2ELi2ELi0ELi1ELi0ELi0EELi0ELb0ELi0ELi0ELi0EEC2EiiPKiS8_PKvPvmhhhP15ncclDevWorkCollP14ncclDevWorkP2pii,@object ; @__PRETTY_FUNCTION__._ZN10PrimitivesIa7FuncSumIaE12FanSymmetricILi1EELi0E11ProtoSimpleILi2ELi2ELi0ELi1ELi0ELi0EELi0ELb0ELi0ELi0ELi0EEC2EiiPKiS8_PKvPvmhhhP15ncclDevWorkCollP14ncclDevWorkP2pii
	.section	.rodata.str1.1,"aMS",@progbits,1
__PRETTY_FUNCTION__._ZN10PrimitivesIa7FuncSumIaE12FanSymmetricILi1EELi0E11ProtoSimpleILi2ELi2ELi0ELi1ELi0ELi0EELi0ELb0ELi0ELi0ELi0EEC2EiiPKiS8_PKvPvmhhhP15ncclDevWorkCollP14ncclDevWorkP2pii:
	.asciz	"Primitives<signed char, FuncSum<signed char>, FanSymmetric<1>, 0, ProtoSimple<2, 2, 0, 1>, 0>::Primitives(int, int, const int *, const int *, const void *, void *, uint64_t, uint8_t, uint8_t, uint8_t, struct ncclDevWorkColl *, struct ncclDevWorkP2p *, int, int) [T = signed char, RedOp = FuncSum<signed char>, Fan = FanSymmetric<1>, Direct = 0, Proto = ProtoSimple<2, 2, 0, 1>, P2p = 0, isNetOffload = false, Metadata = 0, Pipeline = 0, useAcc = 0]"
	.size	__PRETTY_FUNCTION__._ZN10PrimitivesIa7FuncSumIaE12FanSymmetricILi1EELi0E11ProtoSimpleILi2ELi2ELi0ELi1ELi0ELi0EELi0ELb0ELi0ELi0ELi0EEC2EiiPKiS8_PKvPvmhhhP15ncclDevWorkCollP14ncclDevWorkP2pii, 449

	.type	__const.Primitives.roles.5,@object ; @__const.Primitives.roles.5
	.section	.rodata,"a",@progbits
	.p2align	4, 0x0
__const.Primitives.roles.5:
	.long	4                               ; 0x4
	.long	32                              ; 0x20
	.long	8                               ; 0x8
	.long	16                              ; 0x10
	.long	3                               ; 0x3
	.size	__const.Primitives.roles.5, 20

	.type	__PRETTY_FUNCTION__._ZN10PrimitivesIa7FuncSumIaE12FanSymmetricILi1EELi0E11ProtoSimpleILi2ELi2ELi0ELi2ELi0ELi0EELi0ELb0ELi0ELi0ELi0EEC2EiiPKiS8_PKvPvmhhhP15ncclDevWorkCollP14ncclDevWorkP2pii,@object ; @__PRETTY_FUNCTION__._ZN10PrimitivesIa7FuncSumIaE12FanSymmetricILi1EELi0E11ProtoSimpleILi2ELi2ELi0ELi2ELi0ELi0EELi0ELb0ELi0ELi0ELi0EEC2EiiPKiS8_PKvPvmhhhP15ncclDevWorkCollP14ncclDevWorkP2pii
	.section	.rodata.str1.1,"aMS",@progbits,1
__PRETTY_FUNCTION__._ZN10PrimitivesIa7FuncSumIaE12FanSymmetricILi1EELi0E11ProtoSimpleILi2ELi2ELi0ELi2ELi0ELi0EELi0ELb0ELi0ELi0ELi0EEC2EiiPKiS8_PKvPvmhhhP15ncclDevWorkCollP14ncclDevWorkP2pii:
	.asciz	"Primitives<signed char, FuncSum<signed char>, FanSymmetric<1>, 0, ProtoSimple<2, 2, 0, 2>, 0>::Primitives(int, int, const int *, const int *, const void *, void *, uint64_t, uint8_t, uint8_t, uint8_t, struct ncclDevWorkColl *, struct ncclDevWorkP2p *, int, int) [T = signed char, RedOp = FuncSum<signed char>, Fan = FanSymmetric<1>, Direct = 0, Proto = ProtoSimple<2, 2, 0, 2>, P2p = 0, isNetOffload = false, Metadata = 0, Pipeline = 0, useAcc = 0]"
	.size	__PRETTY_FUNCTION__._ZN10PrimitivesIa7FuncSumIaE12FanSymmetricILi1EELi0E11ProtoSimpleILi2ELi2ELi0ELi2ELi0ELi0EELi0ELb0ELi0ELi0ELi0EEC2EiiPKiS8_PKvPvmhhhP15ncclDevWorkCollP14ncclDevWorkP2pii, 449

	.type	__const.Primitives.roles.7,@object ; @__const.Primitives.roles.7
	.section	.rodata,"a",@progbits
	.p2align	4, 0x0
__const.Primitives.roles.7:
	.long	4                               ; 0x4
	.long	32                              ; 0x20
	.long	8                               ; 0x8
	.long	16                              ; 0x10
	.long	3                               ; 0x3
	.size	__const.Primitives.roles.7, 20

	.type	__PRETTY_FUNCTION__._ZN10PrimitivesIa7FuncSumIaE12FanSymmetricILi1EELi0E11ProtoSimpleILi2ELi2ELi0ELi4ELi0ELi0EELi0ELb0ELi0ELi0ELi0EEC2EiiPKiS8_PKvPvmhhhP15ncclDevWorkCollP14ncclDevWorkP2pii,@object ; @__PRETTY_FUNCTION__._ZN10PrimitivesIa7FuncSumIaE12FanSymmetricILi1EELi0E11ProtoSimpleILi2ELi2ELi0ELi4ELi0ELi0EELi0ELb0ELi0ELi0ELi0EEC2EiiPKiS8_PKvPvmhhhP15ncclDevWorkCollP14ncclDevWorkP2pii
	.section	.rodata.str1.1,"aMS",@progbits,1
__PRETTY_FUNCTION__._ZN10PrimitivesIa7FuncSumIaE12FanSymmetricILi1EELi0E11ProtoSimpleILi2ELi2ELi0ELi4ELi0ELi0EELi0ELb0ELi0ELi0ELi0EEC2EiiPKiS8_PKvPvmhhhP15ncclDevWorkCollP14ncclDevWorkP2pii:
	.asciz	"Primitives<signed char, FuncSum<signed char>, FanSymmetric<1>, 0, ProtoSimple<2, 2, 0, 4>, 0>::Primitives(int, int, const int *, const int *, const void *, void *, uint64_t, uint8_t, uint8_t, uint8_t, struct ncclDevWorkColl *, struct ncclDevWorkP2p *, int, int) [T = signed char, RedOp = FuncSum<signed char>, Fan = FanSymmetric<1>, Direct = 0, Proto = ProtoSimple<2, 2, 0, 4>, P2p = 0, isNetOffload = false, Metadata = 0, Pipeline = 0, useAcc = 0]"
	.size	__PRETTY_FUNCTION__._ZN10PrimitivesIa7FuncSumIaE12FanSymmetricILi1EELi0E11ProtoSimpleILi2ELi2ELi0ELi4ELi0ELi0EELi0ELb0ELi0ELi0ELi0EEC2EiiPKiS8_PKvPvmhhhP15ncclDevWorkCollP14ncclDevWorkP2pii, 449

	.type	__hip_cuid_67707dad19496743,@object ; @__hip_cuid_67707dad19496743
	.section	.bss,"aw",@nobits
	.globl	__hip_cuid_67707dad19496743
__hip_cuid_67707dad19496743:
	.byte	0                               ; 0x0
	.size	__hip_cuid_67707dad19496743, 1

	.ident	"AMD clang version 19.0.0git (https://github.com/RadeonOpenCompute/llvm-project roc-6.4.0 25133 c7fe45cf4b819c5991fe208aaa96edf142730f1d)"
	.section	".note.GNU-stack","",@progbits
	.addrsig
	.addrsig_sym _Z42ncclDevFunc_AllGather_RING_LL_Sum_i8_0_0_1v
	.addrsig_sym _Z46ncclDevFunc_AllGather_RING_SIMPLE_Sum_i8_0_0_1v
	.addrsig_sym _Z41ncclDevFunc_AllGather_PAT_LL_Sum_i8_0_0_1v
	.addrsig_sym _Z45ncclDevFunc_AllGather_PAT_SIMPLE_Sum_i8_0_0_1v
	.addrsig_sym _Z42ncclDevFunc_AllGather_RING_LL_Sum_i8_0_0_2v
	.addrsig_sym _Z46ncclDevFunc_AllGather_RING_SIMPLE_Sum_i8_0_0_2v
	.addrsig_sym _Z41ncclDevFunc_AllGather_PAT_LL_Sum_i8_0_0_2v
	.addrsig_sym _Z45ncclDevFunc_AllGather_PAT_SIMPLE_Sum_i8_0_0_2v
	.addrsig_sym _Z42ncclDevFunc_AllGather_RING_LL_Sum_i8_0_0_4v
	.addrsig_sym _Z46ncclDevFunc_AllGather_RING_SIMPLE_Sum_i8_0_0_4v
	.addrsig_sym _Z41ncclDevFunc_AllGather_PAT_LL_Sum_i8_0_0_4v
	.addrsig_sym _Z45ncclDevFunc_AllGather_PAT_SIMPLE_Sum_i8_0_0_4v
	.addrsig_sym ncclShmem
	.addrsig_sym ncclShmemPerWarp
	.addrsig_sym __hip_cuid_67707dad19496743
	.amdgpu_metadata
---
amdhsa.kernels:  []
amdhsa.target:   amdgcn-amd-amdhsa--gfx90a
amdhsa.version:
  - 1
  - 2
...

	.end_amdgpu_metadata
